;; amdgpu-corpus repo=ROCm/rocFFT kind=compiled arch=gfx906 opt=O3
	.text
	.amdgcn_target "amdgcn-amd-amdhsa--gfx906"
	.amdhsa_code_object_version 6
	.protected	fft_rtc_back_len578_factors_17_17_2_wgs_238_tpt_34_halfLds_half_ip_CI_unitstride_sbrr_R2C_dirReg ; -- Begin function fft_rtc_back_len578_factors_17_17_2_wgs_238_tpt_34_halfLds_half_ip_CI_unitstride_sbrr_R2C_dirReg
	.globl	fft_rtc_back_len578_factors_17_17_2_wgs_238_tpt_34_halfLds_half_ip_CI_unitstride_sbrr_R2C_dirReg
	.p2align	8
	.type	fft_rtc_back_len578_factors_17_17_2_wgs_238_tpt_34_halfLds_half_ip_CI_unitstride_sbrr_R2C_dirReg,@function
fft_rtc_back_len578_factors_17_17_2_wgs_238_tpt_34_halfLds_half_ip_CI_unitstride_sbrr_R2C_dirReg: ; @fft_rtc_back_len578_factors_17_17_2_wgs_238_tpt_34_halfLds_half_ip_CI_unitstride_sbrr_R2C_dirReg
; %bb.0:
	s_load_dwordx2 s[12:13], s[4:5], 0x50
	s_load_dwordx4 s[8:11], s[4:5], 0x0
	s_load_dwordx2 s[2:3], s[4:5], 0x18
	v_mul_u32_u24_e32 v1, 0x788, v0
	v_lshrrev_b32_e32 v1, 16, v1
	v_mad_u64_u32 v[1:2], s[0:1], s6, 7, v[1:2]
	v_mov_b32_e32 v5, 0
	s_waitcnt lgkmcnt(0)
	v_cmp_lt_u64_e64 s[0:1], s[10:11], 2
	v_mov_b32_e32 v2, v5
	v_mov_b32_e32 v3, 0
	;; [unrolled: 1-line block ×3, first 2 shown]
	s_and_b64 vcc, exec, s[0:1]
	v_mov_b32_e32 v4, 0
	v_mov_b32_e32 v9, v1
	s_cbranch_vccnz .LBB0_8
; %bb.1:
	s_load_dwordx2 s[0:1], s[4:5], 0x10
	s_add_u32 s6, s2, 8
	s_addc_u32 s7, s3, 0
	v_mov_b32_e32 v3, 0
	v_mov_b32_e32 v8, v2
	s_waitcnt lgkmcnt(0)
	s_add_u32 s16, s0, 8
	s_mov_b64 s[14:15], 1
	v_mov_b32_e32 v4, 0
	s_addc_u32 s17, s1, 0
	v_mov_b32_e32 v7, v1
.LBB0_2:                                ; =>This Inner Loop Header: Depth=1
	s_load_dwordx2 s[18:19], s[16:17], 0x0
                                        ; implicit-def: $vgpr9_vgpr10
	s_waitcnt lgkmcnt(0)
	v_or_b32_e32 v6, s19, v8
	v_cmp_ne_u64_e32 vcc, 0, v[5:6]
	s_and_saveexec_b64 s[0:1], vcc
	s_xor_b64 s[20:21], exec, s[0:1]
	s_cbranch_execz .LBB0_4
; %bb.3:                                ;   in Loop: Header=BB0_2 Depth=1
	v_cvt_f32_u32_e32 v2, s18
	v_cvt_f32_u32_e32 v6, s19
	s_sub_u32 s0, 0, s18
	s_subb_u32 s1, 0, s19
	v_mac_f32_e32 v2, 0x4f800000, v6
	v_rcp_f32_e32 v2, v2
	v_mul_f32_e32 v2, 0x5f7ffffc, v2
	v_mul_f32_e32 v6, 0x2f800000, v2
	v_trunc_f32_e32 v6, v6
	v_mac_f32_e32 v2, 0xcf800000, v6
	v_cvt_u32_f32_e32 v6, v6
	v_cvt_u32_f32_e32 v2, v2
	v_mul_lo_u32 v9, s0, v6
	v_mul_hi_u32 v10, s0, v2
	v_mul_lo_u32 v12, s1, v2
	v_mul_lo_u32 v11, s0, v2
	v_add_u32_e32 v9, v10, v9
	v_add_u32_e32 v9, v9, v12
	v_mul_hi_u32 v10, v2, v11
	v_mul_lo_u32 v12, v2, v9
	v_mul_hi_u32 v14, v2, v9
	v_mul_hi_u32 v13, v6, v11
	v_mul_lo_u32 v11, v6, v11
	v_mul_hi_u32 v15, v6, v9
	v_add_co_u32_e32 v10, vcc, v10, v12
	v_addc_co_u32_e32 v12, vcc, 0, v14, vcc
	v_mul_lo_u32 v9, v6, v9
	v_add_co_u32_e32 v10, vcc, v10, v11
	v_addc_co_u32_e32 v10, vcc, v12, v13, vcc
	v_addc_co_u32_e32 v11, vcc, 0, v15, vcc
	v_add_co_u32_e32 v9, vcc, v10, v9
	v_addc_co_u32_e32 v10, vcc, 0, v11, vcc
	v_add_co_u32_e32 v2, vcc, v2, v9
	v_addc_co_u32_e32 v6, vcc, v6, v10, vcc
	v_mul_lo_u32 v9, s0, v6
	v_mul_hi_u32 v10, s0, v2
	v_mul_lo_u32 v11, s1, v2
	v_mul_lo_u32 v12, s0, v2
	v_add_u32_e32 v9, v10, v9
	v_add_u32_e32 v9, v9, v11
	v_mul_lo_u32 v13, v2, v9
	v_mul_hi_u32 v14, v2, v12
	v_mul_hi_u32 v15, v2, v9
	;; [unrolled: 1-line block ×3, first 2 shown]
	v_mul_lo_u32 v12, v6, v12
	v_mul_hi_u32 v10, v6, v9
	v_add_co_u32_e32 v13, vcc, v14, v13
	v_addc_co_u32_e32 v14, vcc, 0, v15, vcc
	v_mul_lo_u32 v9, v6, v9
	v_add_co_u32_e32 v12, vcc, v13, v12
	v_addc_co_u32_e32 v11, vcc, v14, v11, vcc
	v_addc_co_u32_e32 v10, vcc, 0, v10, vcc
	v_add_co_u32_e32 v9, vcc, v11, v9
	v_addc_co_u32_e32 v10, vcc, 0, v10, vcc
	v_add_co_u32_e32 v2, vcc, v2, v9
	v_addc_co_u32_e32 v6, vcc, v6, v10, vcc
	v_mad_u64_u32 v[9:10], s[0:1], v7, v6, 0
	v_mul_hi_u32 v11, v7, v2
	v_add_co_u32_e32 v13, vcc, v11, v9
	v_addc_co_u32_e32 v14, vcc, 0, v10, vcc
	v_mad_u64_u32 v[9:10], s[0:1], v8, v2, 0
	v_mad_u64_u32 v[11:12], s[0:1], v8, v6, 0
	v_add_co_u32_e32 v2, vcc, v13, v9
	v_addc_co_u32_e32 v2, vcc, v14, v10, vcc
	v_addc_co_u32_e32 v6, vcc, 0, v12, vcc
	v_add_co_u32_e32 v2, vcc, v2, v11
	v_addc_co_u32_e32 v6, vcc, 0, v6, vcc
	v_mul_lo_u32 v11, s19, v2
	v_mul_lo_u32 v12, s18, v6
	v_mad_u64_u32 v[9:10], s[0:1], s18, v2, 0
	v_add3_u32 v10, v10, v12, v11
	v_sub_u32_e32 v11, v8, v10
	v_mov_b32_e32 v12, s19
	v_sub_co_u32_e32 v9, vcc, v7, v9
	v_subb_co_u32_e64 v11, s[0:1], v11, v12, vcc
	v_subrev_co_u32_e64 v12, s[0:1], s18, v9
	v_subbrev_co_u32_e64 v11, s[0:1], 0, v11, s[0:1]
	v_cmp_le_u32_e64 s[0:1], s19, v11
	v_cndmask_b32_e64 v13, 0, -1, s[0:1]
	v_cmp_le_u32_e64 s[0:1], s18, v12
	v_cndmask_b32_e64 v12, 0, -1, s[0:1]
	v_cmp_eq_u32_e64 s[0:1], s19, v11
	v_cndmask_b32_e64 v11, v13, v12, s[0:1]
	v_add_co_u32_e64 v12, s[0:1], 2, v2
	v_addc_co_u32_e64 v13, s[0:1], 0, v6, s[0:1]
	v_add_co_u32_e64 v14, s[0:1], 1, v2
	v_addc_co_u32_e64 v15, s[0:1], 0, v6, s[0:1]
	v_subb_co_u32_e32 v10, vcc, v8, v10, vcc
	v_cmp_ne_u32_e64 s[0:1], 0, v11
	v_cmp_le_u32_e32 vcc, s19, v10
	v_cndmask_b32_e64 v11, v15, v13, s[0:1]
	v_cndmask_b32_e64 v13, 0, -1, vcc
	v_cmp_le_u32_e32 vcc, s18, v9
	v_cndmask_b32_e64 v9, 0, -1, vcc
	v_cmp_eq_u32_e32 vcc, s19, v10
	v_cndmask_b32_e32 v9, v13, v9, vcc
	v_cmp_ne_u32_e32 vcc, 0, v9
	v_cndmask_b32_e32 v10, v6, v11, vcc
	v_cndmask_b32_e64 v6, v14, v12, s[0:1]
	v_cndmask_b32_e32 v9, v2, v6, vcc
.LBB0_4:                                ;   in Loop: Header=BB0_2 Depth=1
	s_andn2_saveexec_b64 s[0:1], s[20:21]
	s_cbranch_execz .LBB0_6
; %bb.5:                                ;   in Loop: Header=BB0_2 Depth=1
	v_cvt_f32_u32_e32 v2, s18
	s_sub_i32 s20, 0, s18
	v_rcp_iflag_f32_e32 v2, v2
	v_mul_f32_e32 v2, 0x4f7ffffe, v2
	v_cvt_u32_f32_e32 v2, v2
	v_mul_lo_u32 v6, s20, v2
	v_mul_hi_u32 v6, v2, v6
	v_add_u32_e32 v2, v2, v6
	v_mul_hi_u32 v2, v7, v2
	v_mul_lo_u32 v6, v2, s18
	v_add_u32_e32 v9, 1, v2
	v_sub_u32_e32 v6, v7, v6
	v_subrev_u32_e32 v10, s18, v6
	v_cmp_le_u32_e32 vcc, s18, v6
	v_cndmask_b32_e32 v6, v6, v10, vcc
	v_cndmask_b32_e32 v2, v2, v9, vcc
	v_add_u32_e32 v9, 1, v2
	v_cmp_le_u32_e32 vcc, s18, v6
	v_cndmask_b32_e32 v9, v2, v9, vcc
	v_mov_b32_e32 v10, v5
.LBB0_6:                                ;   in Loop: Header=BB0_2 Depth=1
	s_or_b64 exec, exec, s[0:1]
	v_mul_lo_u32 v2, v10, s18
	v_mul_lo_u32 v6, v9, s19
	v_mad_u64_u32 v[11:12], s[0:1], v9, s18, 0
	s_load_dwordx2 s[0:1], s[6:7], 0x0
	s_add_u32 s14, s14, 1
	v_add3_u32 v2, v12, v6, v2
	v_sub_co_u32_e32 v6, vcc, v7, v11
	v_subb_co_u32_e32 v2, vcc, v8, v2, vcc
	s_waitcnt lgkmcnt(0)
	v_mul_lo_u32 v2, s0, v2
	v_mul_lo_u32 v7, s1, v6
	v_mad_u64_u32 v[3:4], s[0:1], s0, v6, v[3:4]
	s_addc_u32 s15, s15, 0
	s_add_u32 s6, s6, 8
	v_add3_u32 v4, v7, v4, v2
	v_mov_b32_e32 v6, s10
	v_mov_b32_e32 v7, s11
	s_addc_u32 s7, s7, 0
	v_cmp_ge_u64_e32 vcc, s[14:15], v[6:7]
	s_add_u32 s16, s16, 8
	s_addc_u32 s17, s17, 0
	s_cbranch_vccnz .LBB0_8
; %bb.7:                                ;   in Loop: Header=BB0_2 Depth=1
	v_mov_b32_e32 v7, v9
	v_mov_b32_e32 v8, v10
	s_branch .LBB0_2
.LBB0_8:
	s_lshl_b64 s[0:1], s[10:11], 3
	s_add_u32 s0, s2, s0
	s_addc_u32 s1, s3, s1
	s_load_dwordx2 s[2:3], s[0:1], 0x0
	s_load_dwordx2 s[6:7], s[4:5], 0x20
	s_mov_b32 s0, 0x24924925
	v_mul_hi_u32 v5, v1, s0
                                        ; implicit-def: $vgpr16
                                        ; implicit-def: $vgpr15
                                        ; implicit-def: $vgpr14
                                        ; implicit-def: $vgpr13
                                        ; implicit-def: $vgpr12
                                        ; implicit-def: $vgpr8
	s_waitcnt lgkmcnt(0)
	v_mad_u64_u32 v[2:3], s[0:1], s2, v9, v[3:4]
	v_sub_u32_e32 v4, v1, v5
	v_lshrrev_b32_e32 v4, 1, v4
	v_add_u32_e32 v4, v4, v5
	v_lshrrev_b32_e32 v4, 2, v4
	s_mov_b32 s0, 0x7878788
	v_mul_lo_u32 v4, v4, 7
	v_mul_hi_u32 v5, v0, s0
	v_mul_lo_u32 v6, s2, v10
	v_mul_lo_u32 v7, s3, v9
	v_sub_u32_e32 v1, v1, v4
	v_mul_u32_u24_e32 v4, 34, v5
	v_cmp_gt_u64_e32 vcc, s[6:7], v[9:10]
	v_cmp_le_u64_e64 s[0:1], s[6:7], v[9:10]
	v_sub_u32_e32 v4, v0, v4
	v_add3_u32 v3, v7, v3, v6
	v_add_u32_e32 v10, 34, v4
                                        ; implicit-def: $vgpr9
	s_and_saveexec_b64 s[2:3], s[0:1]
	s_xor_b64 s[0:1], exec, s[2:3]
; %bb.9:
	v_add_u32_e32 v10, 34, v4
	v_add_u32_e32 v16, 0x44, v4
	;; [unrolled: 1-line block ×8, first 2 shown]
; %bb.10:
	s_or_saveexec_b64 s[2:3], s[0:1]
	v_mul_u32_u24_e32 v0, 0x243, v1
	v_lshlrev_b64 v[6:7], 2, v[2:3]
	v_lshlrev_b32_e32 v17, 2, v0
	v_lshlrev_b32_e32 v36, 2, v4
	s_xor_b64 exec, exec, s[2:3]
	s_cbranch_execz .LBB0_12
; %bb.11:
	v_mov_b32_e32 v5, 0
	v_mov_b32_e32 v0, s13
	v_add_co_u32_e64 v2, s[0:1], s12, v6
	v_addc_co_u32_e64 v3, s[0:1], v0, v7, s[0:1]
	v_lshlrev_b64 v[0:1], 2, v[4:5]
	v_add_u32_e32 v16, 0x44, v4
	v_add_co_u32_e64 v0, s[0:1], v2, v0
	v_addc_co_u32_e64 v1, s[0:1], v3, v1, s[0:1]
	global_load_dword v2, v[0:1], off offset:1088
	global_load_dword v3, v[0:1], off offset:1224
	;; [unrolled: 1-line block ×8, first 2 shown]
	global_load_dword v21, v[0:1], off
	global_load_dword v22, v[0:1], off offset:136
	global_load_dword v23, v[0:1], off offset:272
	;; [unrolled: 1-line block ×8, first 2 shown]
	v_add3_u32 v0, 0, v17, v36
	v_add_u32_e32 v1, 0x400, v0
	v_add_u32_e32 v15, 0x66, v4
	;; [unrolled: 1-line block ×6, first 2 shown]
	s_waitcnt vmcnt(15)
	ds_write2_b32 v1, v2, v3 offset0:16 offset1:50
	s_waitcnt vmcnt(13)
	ds_write2_b32 v1, v5, v8 offset0:84 offset1:118
	;; [unrolled: 2-line block ×4, first 2 shown]
	s_waitcnt vmcnt(7)
	ds_write2_b32 v0, v21, v22 offset1:34
	s_waitcnt vmcnt(5)
	ds_write2_b32 v0, v23, v24 offset0:68 offset1:102
	s_waitcnt vmcnt(3)
	ds_write2_b32 v0, v25, v26 offset0:136 offset1:170
	;; [unrolled: 2-line block ×3, first 2 shown]
	s_waitcnt vmcnt(0)
	ds_write_b32 v0, v29 offset:2176
	v_add_u32_e32 v8, 0x110, v4
.LBB0_12:
	s_or_b64 exec, exec, s[2:3]
	v_add3_u32 v38, 0, v36, v17
	v_add_u32_e32 v37, 0, v17
	v_add_u32_e32 v0, 0x200, v38
	;; [unrolled: 1-line block ×3, first 2 shown]
	s_waitcnt lgkmcnt(0)
	s_barrier
	v_add_u32_e32 v35, v37, v36
	ds_read2_b32 v[23:24], v38 offset0:34 offset1:68
	ds_read2_b32 v[0:1], v0 offset0:110 offset1:144
	;; [unrolled: 1-line block ×5, first 2 shown]
	ds_read_b32 v18, v35
	v_add_u32_e32 v11, 0x600, v38
	ds_read2_b32 v[39:40], v38 offset0:102 offset1:136
	ds_read2_b32 v[25:26], v11 offset0:126 offset1:160
	;; [unrolled: 1-line block ×3, first 2 shown]
	s_mov_b32 s20, 0xb5c8
	s_movk_i32 s21, 0x3b76
	s_waitcnt lgkmcnt(3)
	v_pk_add_f16 v19, v18, v23
	v_pk_add_f16 v19, v19, v24
	s_waitcnt lgkmcnt(2)
	v_pk_add_f16 v19, v19, v39
	v_pk_add_f16 v19, v19, v40
	;; [unrolled: 3-line block ×3, first 2 shown]
	v_pk_add_f16 v19, v19, v0
	v_pk_add_f16 v19, v19, v1
	;; [unrolled: 1-line block ×8, first 2 shown]
	v_pk_add_f16 v21, v23, v26 neg_lo:[0,1] neg_hi:[0,1]
	v_pk_add_f16 v19, v19, v25
	v_pk_add_f16 v22, v26, v23
	v_pk_mul_f16 v20, v21, s20 op_sel_hi:[1,0]
	v_pk_add_f16 v60, v19, v26
	v_pk_fma_f16 v19, v22, s21, v20 op_sel:[0,0,1] op_sel_hi:[1,0,0]
	v_pk_fma_f16 v20, v22, s21, v20 op_sel:[0,0,1] op_sel_hi:[1,0,0] neg_lo:[0,0,1] neg_hi:[0,0,1]
	s_mov_b32 s4, 0xffff
	s_mov_b32 s15, 0xb964
	v_bfi_b32 v23, s4, v19, v20
	v_mul_f16_sdwa v45, v21, s15 dst_sel:DWORD dst_unused:UNUSED_PAD src0_sel:WORD_1 src1_sel:DWORD
	s_movk_i32 s16, 0x39e9
	v_pk_add_f16 v27, v18, v23
	v_fma_f16 v23, v22, s16, v45
	v_mul_f16_sdwa v46, v22, s16 dst_sel:DWORD dst_unused:UNUSED_PAD src0_sel:WORD_1 src1_sel:DWORD
	s_movk_i32 s17, 0x3964
	s_mov_b32 s10, 0xbb29
	v_add_f16_e32 v28, v18, v23
	v_fma_f16 v23, v21, s17, v46
	v_mul_f16_sdwa v47, v21, s10 dst_sel:DWORD dst_unused:UNUSED_PAD src0_sel:WORD_1 src1_sel:DWORD
	s_movk_i32 s11, 0x3722
	v_add_f16_sdwa v29, v18, v23 dst_sel:DWORD dst_unused:UNUSED_PAD src0_sel:WORD_1 src1_sel:DWORD
	v_fma_f16 v23, v22, s11, v47
	v_mul_f16_sdwa v48, v22, s11 dst_sel:DWORD dst_unused:UNUSED_PAD src0_sel:WORD_1 src1_sel:DWORD
	s_movk_i32 s14, 0x3b29
	v_pk_add_f16 v26, v25, v24
	v_pk_add_f16 v25, v24, v25 neg_lo:[0,1] neg_hi:[0,1]
	v_add_f16_e32 v30, v18, v23
	v_fma_f16 v23, v21, s14, v48
	v_pk_mul_f16 v24, v25, s15 op_sel_hi:[1,0]
	v_add_f16_sdwa v33, v18, v23 dst_sel:DWORD dst_unused:UNUSED_PAD src0_sel:WORD_1 src1_sel:DWORD
	s_mov_b32 s5, 0xbbf7
	v_pk_fma_f16 v23, v26, s16, v24 op_sel:[0,0,1] op_sel_hi:[1,0,0]
	v_pk_fma_f16 v24, v26, s16, v24 op_sel:[0,0,1] op_sel_hi:[1,0,0] neg_lo:[0,0,1] neg_hi:[0,0,1]
	s_movk_i32 s6, 0x2de8
	v_bfi_b32 v34, s4, v23, v24
	v_mul_f16_sdwa v54, v25, s5 dst_sel:DWORD dst_unused:UNUSED_PAD src0_sel:WORD_1 src1_sel:DWORD
	s_movk_i32 s7, 0x3bf7
	s_mov_b32 s22, 0xba62
	v_pk_add_f16 v34, v34, v27
	v_fma_f16 v27, v26, s6, v54
	v_mul_f16_sdwa v52, v26, s6 dst_sel:DWORD dst_unused:UNUSED_PAD src0_sel:WORD_1 src1_sel:DWORD
	s_mov_b32 s23, 0xb8d2
	v_add_f16_e32 v61, v27, v28
	v_fma_f16 v27, v25, s7, v52
	v_mul_f16_sdwa v56, v25, s22 dst_sel:DWORD dst_unused:UNUSED_PAD src0_sel:WORD_1 src1_sel:DWORD
	s_movk_i32 s24, 0x3a62
	v_add_f16_e32 v62, v27, v29
	v_fma_f16 v27, v26, s23, v56
	v_mul_f16_sdwa v55, v26, s23 dst_sel:DWORD dst_unused:UNUSED_PAD src0_sel:WORD_1 src1_sel:DWORD
	v_pk_add_f16 v29, v39, v32 neg_lo:[0,1] neg_hi:[0,1]
	v_add_f16_e32 v63, v27, v30
	v_fma_f16 v27, v25, s24, v55
	v_pk_add_f16 v30, v32, v39
	v_pk_mul_f16 v28, v29, s10 op_sel_hi:[1,0]
	v_add_f16_e32 v64, v27, v33
	v_pk_fma_f16 v27, v30, s11, v28 op_sel:[0,0,1] op_sel_hi:[1,0,0]
	v_pk_fma_f16 v28, v30, s11, v28 op_sel:[0,0,1] op_sel_hi:[1,0,0] neg_lo:[0,0,1] neg_hi:[0,0,1]
	v_bfi_b32 v32, s4, v27, v28
	v_pk_add_f16 v33, v40, v31 neg_lo:[0,1] neg_hi:[0,1]
	v_pk_add_f16 v39, v32, v34
	v_pk_add_f16 v34, v31, v40
	v_pk_mul_f16 v32, v33, s5 op_sel_hi:[1,0]
	v_pk_fma_f16 v31, v34, s6, v32 op_sel:[0,0,1] op_sel_hi:[1,0,0]
	v_pk_fma_f16 v32, v34, s6, v32 op_sel:[0,0,1] op_sel_hi:[1,0,0] neg_lo:[0,0,1] neg_hi:[0,0,1]
	s_mov_b32 s18, 0xbbb2
	v_bfi_b32 v40, s4, v31, v32
	v_pk_add_f16 v41, v50, v44 neg_lo:[0,1] neg_hi:[0,1]
	s_mov_b32 s19, 0xb461
	v_pk_add_f16 v49, v40, v39
	v_pk_add_f16 v42, v44, v50
	v_pk_mul_f16 v40, v41, s18 op_sel_hi:[1,0]
	v_pk_fma_f16 v39, v42, s19, v40 op_sel:[0,0,1] op_sel_hi:[1,0,0]
	v_pk_fma_f16 v40, v42, s19, v40 op_sel:[0,0,1] op_sel_hi:[1,0,0] neg_lo:[0,0,1] neg_hi:[0,0,1]
	v_bfi_b32 v44, s4, v39, v40
	v_pk_add_f16 v53, v44, v49
	v_pk_add_f16 v49, v51, v43 neg_lo:[0,1] neg_hi:[0,1]
	v_pk_add_f16 v50, v43, v51
	v_pk_mul_f16 v44, v49, s22 op_sel_hi:[1,0]
	v_pk_fma_f16 v43, v50, s23, v44 op_sel:[0,0,1] op_sel_hi:[1,0,0]
	v_pk_fma_f16 v44, v50, s23, v44 op_sel:[0,0,1] op_sel_hi:[1,0,0] neg_lo:[0,0,1] neg_hi:[0,0,1]
	v_bfi_b32 v51, s4, v43, v44
	s_mov_b32 s25, 0xb836
	v_pk_add_f16 v57, v51, v53
	v_pk_add_f16 v51, v0, v3 neg_lo:[0,1] neg_hi:[0,1]
	s_mov_b32 s26, 0xbacd
	v_pk_add_f16 v53, v3, v0
	v_pk_mul_f16 v3, v51, s25 op_sel_hi:[1,0]
	v_pk_fma_f16 v0, v53, s26, v3 op_sel:[0,0,1] op_sel_hi:[1,0,0]
	v_pk_fma_f16 v3, v53, s26, v3 op_sel:[0,0,1] op_sel_hi:[1,0,0] neg_lo:[0,0,1] neg_hi:[0,0,1]
	v_bfi_b32 v58, s4, v0, v3
	s_mov_b32 s27, 0xb1e1
	v_pk_add_f16 v57, v58, v57
	v_pk_add_f16 v58, v1, v2 neg_lo:[0,1] neg_hi:[0,1]
	s_mov_b32 s28, 0xbbdd
	v_pk_add_f16 v59, v2, v1
	v_pk_mul_f16 v2, v58, s27 op_sel_hi:[1,0]
	v_pk_fma_f16 v1, v59, s28, v2 op_sel:[0,0,1] op_sel_hi:[1,0,0]
	v_pk_fma_f16 v2, v59, s28, v2 op_sel:[0,0,1] op_sel_hi:[1,0,0] neg_lo:[0,0,1] neg_hi:[0,0,1]
	s_movk_i32 s0, 0x44
	v_bfi_b32 v65, s4, v1, v2
	v_pk_add_f16 v65, v65, v57
	v_mad_u32_u24 v57, v4, s0, v37
	s_barrier
	ds_write2_b32 v57, v60, v65 offset1:1
	v_mul_f16_sdwa v60, v29, s22 dst_sel:DWORD dst_unused:UNUSED_PAD src0_sel:WORD_1 src1_sel:DWORD
	v_fma_f16 v65, v30, s23, v60
	v_add_f16_e32 v61, v65, v61
	v_mul_f16_sdwa v65, v30, s23 dst_sel:DWORD dst_unused:UNUSED_PAD src0_sel:WORD_1 src1_sel:DWORD
	v_fma_f16 v66, v29, s24, v65
	s_movk_i32 s31, 0x31e1
	v_add_f16_e32 v62, v66, v62
	v_mul_f16_sdwa v66, v29, s31 dst_sel:DWORD dst_unused:UNUSED_PAD src0_sel:WORD_1 src1_sel:DWORD
	v_fma_f16 v67, v30, s28, v66
	v_add_f16_e32 v63, v67, v63
	v_mul_f16_sdwa v67, v30, s28 dst_sel:DWORD dst_unused:UNUSED_PAD src0_sel:WORD_1 src1_sel:DWORD
	v_fma_f16 v68, v29, s27, v67
	;; [unrolled: 3-line block ×4, first 2 shown]
	s_movk_i32 s29, 0x3bb2
	v_add_f16_e32 v62, v70, v62
	v_mul_f16_sdwa v70, v33, s29 dst_sel:DWORD dst_unused:UNUSED_PAD src0_sel:WORD_1 src1_sel:DWORD
	v_fma_f16 v71, v34, s19, v70
	v_add_f16_e32 v63, v71, v63
	v_mul_f16_sdwa v71, v34, s19 dst_sel:DWORD dst_unused:UNUSED_PAD src0_sel:WORD_1 src1_sel:DWORD
	v_fma_f16 v72, v33, s18, v71
	s_movk_i32 s30, 0x3836
	v_add_f16_e32 v64, v72, v64
	v_mul_f16_sdwa v72, v41, s30 dst_sel:DWORD dst_unused:UNUSED_PAD src0_sel:WORD_1 src1_sel:DWORD
	v_fma_f16 v73, v42, s26, v72
	v_add_f16_e32 v61, v73, v61
	v_mul_f16_sdwa v73, v42, s26 dst_sel:DWORD dst_unused:UNUSED_PAD src0_sel:WORD_1 src1_sel:DWORD
	v_fma_f16 v74, v41, s25, v73
	;; [unrolled: 3-line block ×7, first 2 shown]
	v_add_f16_e32 v63, v79, v63
	s_movk_i32 s33, 0x35c8
	v_mul_f16_sdwa v79, v50, s21 dst_sel:DWORD dst_unused:UNUSED_PAD src0_sel:WORD_1 src1_sel:DWORD
	v_fma_f16 v80, v49, s33, v79
	v_add_f16_e32 v64, v80, v64
	v_mul_f16_sdwa v80, v51, s14 dst_sel:DWORD dst_unused:UNUSED_PAD src0_sel:WORD_1 src1_sel:DWORD
	v_fma_f16 v81, v53, s11, v80
	v_add_f16_e32 v61, v81, v61
	v_mul_f16_sdwa v81, v53, s11 dst_sel:DWORD dst_unused:UNUSED_PAD src0_sel:WORD_1 src1_sel:DWORD
	v_fma_f16 v82, v51, s10, v81
	v_add_f16_e32 v62, v82, v62
	v_mul_f16_sdwa v82, v51, s5 dst_sel:DWORD dst_unused:UNUSED_PAD src0_sel:WORD_1 src1_sel:DWORD
	v_fma_f16 v83, v53, s6, v82
	v_add_f16_e32 v63, v83, v63
	v_mul_f16_sdwa v83, v53, s6 dst_sel:DWORD dst_unused:UNUSED_PAD src0_sel:WORD_1 src1_sel:DWORD
	v_fma_f16 v84, v51, s7, v83
	v_add_f16_e32 v64, v84, v64
	v_mul_f16_sdwa v84, v58, s33 dst_sel:DWORD dst_unused:UNUSED_PAD src0_sel:WORD_1 src1_sel:DWORD
	v_fma_f16 v85, v59, s21, v84
	v_add_f16_e32 v61, v85, v61
	v_mul_f16_sdwa v85, v59, s21 dst_sel:DWORD dst_unused:UNUSED_PAD src0_sel:WORD_1 src1_sel:DWORD
	v_fma_f16 v86, v58, s20, v85
	v_add_f16_e32 v62, v86, v62
	v_mul_f16_sdwa v86, v58, s25 dst_sel:DWORD dst_unused:UNUSED_PAD src0_sel:WORD_1 src1_sel:DWORD
	v_fma_f16 v87, v59, s26, v86
	v_add_f16_e32 v63, v87, v63
	v_mul_f16_sdwa v87, v59, s26 dst_sel:DWORD dst_unused:UNUSED_PAD src0_sel:WORD_1 src1_sel:DWORD
	v_fma_f16 v88, v58, s30, v87
	v_add_f16_e32 v64, v88, v64
	v_pack_b32_f16 v63, v63, v64
	v_pack_b32_f16 v61, v61, v62
	ds_write2_b32 v57, v61, v63 offset0:2 offset1:3
	v_mul_f16_sdwa v61, v21, s5 dst_sel:DWORD dst_unused:UNUSED_PAD src0_sel:WORD_1 src1_sel:DWORD
	v_fma_f16 v62, v22, s6, v61
	v_mul_f16_sdwa v63, v25, s27 dst_sel:DWORD dst_unused:UNUSED_PAD src0_sel:WORD_1 src1_sel:DWORD
	v_add_f16_e32 v62, v18, v62
	v_fma_f16 v64, v26, s28, v63
	v_add_f16_e32 v62, v64, v62
	v_mul_f16_sdwa v64, v22, s6 dst_sel:DWORD dst_unused:UNUSED_PAD src0_sel:WORD_1 src1_sel:DWORD
	v_fma_f16 v88, v21, s7, v64
	v_mul_f16_sdwa v89, v26, s28 dst_sel:DWORD dst_unused:UNUSED_PAD src0_sel:WORD_1 src1_sel:DWORD
	v_add_f16_sdwa v88, v18, v88 dst_sel:DWORD dst_unused:UNUSED_PAD src0_sel:WORD_1 src1_sel:DWORD
	v_fma_f16 v90, v25, s31, v89
	v_add_f16_e32 v88, v90, v88
	v_mul_f16_sdwa v90, v21, s18 dst_sel:DWORD dst_unused:UNUSED_PAD src0_sel:WORD_1 src1_sel:DWORD
	v_fma_f16 v91, v22, s19, v90
	v_mul_f16_sdwa v92, v25, s30 dst_sel:DWORD dst_unused:UNUSED_PAD src0_sel:WORD_1 src1_sel:DWORD
	v_add_f16_e32 v91, v18, v91
	v_fma_f16 v93, v26, s26, v92
	v_add_f16_e32 v91, v93, v91
	v_mul_f16_sdwa v93, v22, s19 dst_sel:DWORD dst_unused:UNUSED_PAD src0_sel:WORD_1 src1_sel:DWORD
	v_fma_f16 v94, v21, s29, v93
	v_mul_f16_sdwa v95, v26, s26 dst_sel:DWORD dst_unused:UNUSED_PAD src0_sel:WORD_1 src1_sel:DWORD
	v_add_f16_sdwa v94, v18, v94 dst_sel:DWORD dst_unused:UNUSED_PAD src0_sel:WORD_1 src1_sel:DWORD
	v_fma_f16 v96, v25, s25, v95
	v_add_f16_e32 v94, v96, v94
	v_mul_f16_sdwa v96, v29, s29 dst_sel:DWORD dst_unused:UNUSED_PAD src0_sel:WORD_1 src1_sel:DWORD
	v_fma_f16 v97, v30, s19, v96
	v_add_f16_e32 v62, v97, v62
	v_mul_f16_sdwa v97, v30, s19 dst_sel:DWORD dst_unused:UNUSED_PAD src0_sel:WORD_1 src1_sel:DWORD
	;; [unrolled: 3-line block ×19, first 2 shown]
	v_fma_f16 v115, v53, s21, v114
	v_fma_f16 v46, v21, s15, v46
	v_add_f16_e32 v91, v115, v91
	v_mul_f16_sdwa v115, v53, s21 dst_sel:DWORD dst_unused:UNUSED_PAD src0_sel:WORD_1 src1_sel:DWORD
	v_add_f16_sdwa v46, v18, v46 dst_sel:DWORD dst_unused:UNUSED_PAD src0_sel:WORD_1 src1_sel:DWORD
	v_fma_f16 v52, v25, s5, v52
	v_fma_f16 v47, v22, s11, -v47
	v_fma_f16 v116, v51, s33, v115
	v_add_f16_e32 v46, v52, v46
	v_add_f16_e32 v47, v18, v47
	v_fma_f16 v52, v26, s23, -v56
	v_fma_f16 v48, v21, s10, v48
	v_add_f16_e32 v94, v116, v94
	v_mul_f16_sdwa v116, v58, s17 dst_sel:DWORD dst_unused:UNUSED_PAD src0_sel:WORD_1 src1_sel:DWORD
	v_fma_f16 v45, v22, s16, -v45
	v_add_f16_e32 v47, v52, v47
	v_add_f16_sdwa v48, v18, v48 dst_sel:DWORD dst_unused:UNUSED_PAD src0_sel:WORD_1 src1_sel:DWORD
	v_fma_f16 v52, v25, s22, v55
	v_fma_f16 v117, v59, s16, v116
	v_add_f16_e32 v45, v18, v45
	v_fma_f16 v54, v26, s6, -v54
	v_add_f16_e32 v48, v52, v48
	v_fma_f16 v52, v22, s6, -v61
	v_add_f16_e32 v62, v117, v62
	v_mul_f16_sdwa v117, v59, s16 dst_sel:DWORD dst_unused:UNUSED_PAD src0_sel:WORD_1 src1_sel:DWORD
	v_add_f16_e32 v45, v54, v45
	v_add_f16_e32 v52, v18, v52
	v_fma_f16 v54, v26, s28, -v63
	v_fma_f16 v118, v58, s15, v117
	v_add_f16_e32 v52, v54, v52
	v_fma_f16 v54, v21, s5, v64
	v_add_f16_e32 v88, v118, v88
	v_mul_f16_sdwa v118, v58, s22 dst_sel:DWORD dst_unused:UNUSED_PAD src0_sel:WORD_1 src1_sel:DWORD
	v_add_f16_sdwa v54, v18, v54 dst_sel:DWORD dst_unused:UNUSED_PAD src0_sel:WORD_1 src1_sel:DWORD
	v_fma_f16 v55, v25, s27, v89
	v_fma_f16 v119, v59, s23, v118
	v_add_f16_e32 v54, v55, v54
	v_fma_f16 v55, v22, s19, -v90
	v_fma_f16 v60, v30, s23, -v60
	v_add_f16_e32 v91, v119, v91
	v_mul_f16_sdwa v119, v59, s23 dst_sel:DWORD dst_unused:UNUSED_PAD src0_sel:WORD_1 src1_sel:DWORD
	v_add_f16_e32 v55, v18, v55
	v_fma_f16 v56, v26, s26, -v92
	v_add_f16_e32 v45, v60, v45
	v_fma_f16 v60, v29, s22, v65
	v_fma_f16 v120, v58, s24, v119
	v_add_f16_e32 v55, v56, v55
	v_fma_f16 v56, v21, s18, v93
	v_add_f16_e32 v46, v60, v46
	v_fma_f16 v60, v30, s28, -v66
	v_add_f16_e32 v94, v120, v94
	v_add_f16_sdwa v56, v18, v56 dst_sel:DWORD dst_unused:UNUSED_PAD src0_sel:WORD_1 src1_sel:DWORD
	v_fma_f16 v61, v25, s30, v95
	v_add_f16_e32 v47, v60, v47
	v_fma_f16 v60, v29, s31, v67
	v_pack_b32_f16 v91, v91, v94
	v_pack_b32_f16 v62, v62, v88
	v_add_f16_e32 v56, v61, v56
	v_mul_f16_sdwa v61, v21, s22 dst_sel:DWORD dst_unused:UNUSED_PAD src0_sel:WORD_1 src1_sel:DWORD
	v_add_f16_e32 v48, v60, v48
	v_fma_f16 v60, v30, s19, -v96
	ds_write2_b32 v57, v62, v91 offset0:4 offset1:5
	v_fma_f16 v62, v22, s23, v61
	v_mul_f16_sdwa v63, v25, s29 dst_sel:DWORD dst_unused:UNUSED_PAD src0_sel:WORD_1 src1_sel:DWORD
	v_add_f16_e32 v52, v60, v52
	v_fma_f16 v60, v29, s29, v97
	v_add_f16_e32 v62, v18, v62
	v_fma_f16 v64, v26, s19, v63
	v_fma_f16 v61, v22, s23, -v61
	v_add_f16_e32 v54, v60, v54
	v_fma_f16 v60, v30, s16, -v98
	v_add_f16_e32 v62, v64, v62
	v_mul_f16_sdwa v64, v22, s23 dst_sel:DWORD dst_unused:UNUSED_PAD src0_sel:WORD_1 src1_sel:DWORD
	v_add_f16_e32 v61, v18, v61
	v_fma_f16 v63, v26, s19, -v63
	v_add_f16_e32 v55, v60, v55
	v_fma_f16 v60, v29, s17, v99
	v_mul_f16_sdwa v89, v26, s19 dst_sel:DWORD dst_unused:UNUSED_PAD src0_sel:WORD_1 src1_sel:DWORD
	v_add_f16_e32 v61, v63, v61
	v_fma_f16 v63, v21, s22, v64
	v_add_f16_e32 v56, v60, v56
	v_mul_f16_sdwa v60, v29, s20 dst_sel:DWORD dst_unused:UNUSED_PAD src0_sel:WORD_1 src1_sel:DWORD
	v_fma_f16 v88, v21, s24, v64
	v_add_f16_sdwa v63, v18, v63 dst_sel:DWORD dst_unused:UNUSED_PAD src0_sel:WORD_1 src1_sel:DWORD
	v_fma_f16 v64, v25, s29, v89
	v_fma_f16 v65, v30, s21, v60
	v_add_f16_sdwa v88, v18, v88 dst_sel:DWORD dst_unused:UNUSED_PAD src0_sel:WORD_1 src1_sel:DWORD
	v_fma_f16 v90, v25, s18, v89
	v_add_f16_e32 v63, v64, v63
	v_mul_f16_sdwa v64, v21, s25 dst_sel:DWORD dst_unused:UNUSED_PAD src0_sel:WORD_1 src1_sel:DWORD
	v_add_f16_e32 v62, v65, v62
	v_mul_f16_sdwa v65, v30, s21 dst_sel:DWORD dst_unused:UNUSED_PAD src0_sel:WORD_1 src1_sel:DWORD
	v_fma_f16 v60, v30, s21, -v60
	v_add_f16_e32 v88, v90, v88
	v_fma_f16 v89, v22, s26, v64
	v_mul_f16_sdwa v90, v25, s14 dst_sel:DWORD dst_unused:UNUSED_PAD src0_sel:WORD_1 src1_sel:DWORD
	v_fma_f16 v64, v22, s26, -v64
	v_add_f16_e32 v60, v60, v61
	v_fma_f16 v61, v29, s20, v65
	v_fma_f16 v91, v26, s11, v90
	v_add_f16_e32 v64, v18, v64
	v_fma_f16 v90, v26, s11, -v90
	v_add_f16_e32 v61, v61, v63
	v_mul_f16_sdwa v63, v29, s5 dst_sel:DWORD dst_unused:UNUSED_PAD src0_sel:WORD_1 src1_sel:DWORD
	v_add_f16_e32 v64, v90, v64
	v_fma_f16 v66, v29, s33, v65
	v_fma_f16 v65, v30, s6, v63
	v_mul_f16_sdwa v67, v30, s6 dst_sel:DWORD dst_unused:UNUSED_PAD src0_sel:WORD_1 src1_sel:DWORD
	v_fma_f16 v63, v30, s6, -v63
	v_add_f16_e32 v66, v66, v88
	v_fma_f16 v88, v29, s7, v67
	v_add_f16_e32 v63, v63, v64
	v_fma_f16 v64, v29, s5, v67
	v_fma_f16 v67, v34, s28, -v68
	v_add_f16_e32 v45, v67, v45
	v_fma_f16 v67, v33, s27, v69
	v_add_f16_e32 v46, v67, v46
	v_fma_f16 v67, v34, s19, -v70
	v_add_f16_e32 v47, v67, v47
	v_fma_f16 v67, v33, s29, v71
	v_add_f16_e32 v48, v67, v48
	;; [unrolled: 4-line block ×4, first 2 shown]
	v_mul_f16_sdwa v67, v33, s25 dst_sel:DWORD dst_unused:UNUSED_PAD src0_sel:WORD_1 src1_sel:DWORD
	v_fma_f16 v68, v34, s26, v67
	v_add_f16_e32 v89, v18, v89
	v_add_f16_e32 v62, v68, v62
	v_mul_f16_sdwa v68, v34, s26 dst_sel:DWORD dst_unused:UNUSED_PAD src0_sel:WORD_1 src1_sel:DWORD
	v_fma_f16 v67, v34, s26, -v67
	v_add_f16_e32 v89, v91, v89
	v_mul_f16_sdwa v91, v22, s26 dst_sel:DWORD dst_unused:UNUSED_PAD src0_sel:WORD_1 src1_sel:DWORD
	v_add_f16_e32 v60, v67, v60
	v_fma_f16 v67, v33, s25, v68
	v_mul_f16_sdwa v93, v26, s11 dst_sel:DWORD dst_unused:UNUSED_PAD src0_sel:WORD_1 src1_sel:DWORD
	v_fma_f16 v90, v21, s25, v91
	v_add_f16_e32 v61, v67, v61
	v_mul_f16_sdwa v67, v33, s24 dst_sel:DWORD dst_unused:UNUSED_PAD src0_sel:WORD_1 src1_sel:DWORD
	v_fma_f16 v92, v21, s30, v91
	v_add_f16_sdwa v90, v18, v90 dst_sel:DWORD dst_unused:UNUSED_PAD src0_sel:WORD_1 src1_sel:DWORD
	v_fma_f16 v91, v25, s14, v93
	v_add_f16_e32 v65, v65, v89
	v_fma_f16 v69, v33, s30, v68
	v_fma_f16 v68, v34, s23, v67
	v_add_f16_e32 v90, v91, v90
	v_add_f16_e32 v65, v68, v65
	v_mul_f16_sdwa v68, v34, s23 dst_sel:DWORD dst_unused:UNUSED_PAD src0_sel:WORD_1 src1_sel:DWORD
	v_fma_f16 v67, v34, s23, -v67
	v_add_f16_e32 v64, v64, v90
	v_add_f16_e32 v63, v67, v63
	v_fma_f16 v67, v33, s24, v68
	v_add_f16_e32 v64, v67, v64
	v_fma_f16 v67, v42, s26, -v72
	v_add_f16_e32 v45, v67, v45
	v_fma_f16 v67, v41, s30, v73
	v_add_f16_e32 v46, v67, v46
	v_fma_f16 v67, v42, s16, -v74
	;; [unrolled: 4-line block ×4, first 2 shown]
	v_add_f16_e32 v55, v67, v55
	v_fma_f16 v67, v41, s27, v107
	v_add_f16_e32 v56, v67, v56
	v_mul_f16_sdwa v67, v41, s7 dst_sel:DWORD dst_unused:UNUSED_PAD src0_sel:WORD_1 src1_sel:DWORD
	v_add_f16_e32 v66, v69, v66
	v_fma_f16 v69, v33, s22, v68
	v_fma_f16 v68, v42, s6, v67
	v_add_f16_e32 v62, v68, v62
	v_mul_f16_sdwa v68, v42, s6 dst_sel:DWORD dst_unused:UNUSED_PAD src0_sel:WORD_1 src1_sel:DWORD
	v_fma_f16 v67, v42, s6, -v67
	v_add_f16_e32 v60, v67, v60
	v_fma_f16 v67, v41, s7, v68
	v_add_f16_e32 v61, v67, v61
	v_mul_f16_sdwa v67, v41, s20 dst_sel:DWORD dst_unused:UNUSED_PAD src0_sel:WORD_1 src1_sel:DWORD
	v_fma_f16 v70, v41, s5, v68
	v_fma_f16 v68, v42, s21, v67
	v_add_f16_e32 v65, v68, v65
	v_mul_f16_sdwa v68, v42, s21 dst_sel:DWORD dst_unused:UNUSED_PAD src0_sel:WORD_1 src1_sel:DWORD
	v_fma_f16 v67, v42, s21, -v67
	v_add_f16_e32 v63, v67, v63
	v_fma_f16 v67, v41, s20, v68
	v_add_f16_e32 v64, v67, v64
	v_fma_f16 v67, v50, s19, -v76
	v_add_f16_e32 v45, v67, v45
	v_fma_f16 v67, v49, s29, v77
	v_add_f16_e32 v46, v67, v46
	;; [unrolled: 4-line block ×5, first 2 shown]
	v_mul_f16_sdwa v67, v49, s15 dst_sel:DWORD dst_unused:UNUSED_PAD src0_sel:WORD_1 src1_sel:DWORD
	v_add_f16_sdwa v92, v18, v92 dst_sel:DWORD dst_unused:UNUSED_PAD src0_sel:WORD_1 src1_sel:DWORD
	v_fma_f16 v94, v25, s10, v93
	v_add_f16_e32 v66, v70, v66
	v_fma_f16 v70, v41, s33, v68
	v_fma_f16 v68, v50, s16, v67
	v_add_f16_e32 v92, v94, v92
	v_add_f16_e32 v62, v68, v62
	v_mul_f16_sdwa v68, v50, s16 dst_sel:DWORD dst_unused:UNUSED_PAD src0_sel:WORD_1 src1_sel:DWORD
	v_fma_f16 v67, v50, s16, -v67
	v_add_f16_e32 v88, v88, v92
	v_add_f16_e32 v60, v67, v60
	v_fma_f16 v67, v49, s15, v68
	v_add_f16_e32 v69, v69, v88
	v_add_f16_e32 v61, v67, v61
	v_mul_f16_sdwa v67, v49, s27 dst_sel:DWORD dst_unused:UNUSED_PAD src0_sel:WORD_1 src1_sel:DWORD
	v_add_f16_e32 v69, v70, v69
	v_fma_f16 v70, v49, s17, v68
	v_fma_f16 v68, v50, s28, v67
	v_add_f16_e32 v65, v68, v65
	v_mul_f16_sdwa v68, v50, s28 dst_sel:DWORD dst_unused:UNUSED_PAD src0_sel:WORD_1 src1_sel:DWORD
	v_fma_f16 v67, v50, s28, -v67
	v_add_f16_e32 v63, v67, v63
	v_fma_f16 v67, v49, s27, v68
	v_add_f16_e32 v64, v67, v64
	v_fma_f16 v67, v53, s11, -v80
	v_add_f16_e32 v45, v67, v45
	v_fma_f16 v67, v51, s14, v81
	v_add_f16_e32 v46, v67, v46
	v_fma_f16 v67, v53, s6, -v82
	v_add_f16_e32 v47, v67, v47
	v_fma_f16 v67, v51, s5, v83
	v_add_f16_e32 v48, v67, v48
	v_fma_f16 v67, v53, s23, -v112
	v_add_f16_e32 v52, v67, v52
	v_fma_f16 v67, v51, s24, v113
	v_add_f16_e32 v54, v67, v54
	v_fma_f16 v67, v53, s21, -v114
	v_add_f16_e32 v55, v67, v55
	v_fma_f16 v67, v51, s20, v115
	v_add_f16_e32 v56, v67, v56
	v_mul_f16_sdwa v67, v51, s27 dst_sel:DWORD dst_unused:UNUSED_PAD src0_sel:WORD_1 src1_sel:DWORD
	v_add_f16_e32 v66, v70, v66
	v_fma_f16 v70, v49, s31, v68
	v_fma_f16 v68, v53, s28, v67
	v_add_f16_e32 v62, v68, v62
	v_mul_f16_sdwa v68, v53, s28 dst_sel:DWORD dst_unused:UNUSED_PAD src0_sel:WORD_1 src1_sel:DWORD
	v_fma_f16 v67, v53, s28, -v67
	v_add_f16_e32 v60, v67, v60
	v_fma_f16 v67, v51, s27, v68
	v_add_f16_e32 v61, v67, v61
	v_mul_f16_sdwa v67, v51, s17 dst_sel:DWORD dst_unused:UNUSED_PAD src0_sel:WORD_1 src1_sel:DWORD
	v_add_f16_e32 v69, v70, v69
	v_fma_f16 v70, v51, s31, v68
	v_fma_f16 v68, v53, s16, v67
	v_add_f16_e32 v65, v68, v65
	v_mul_f16_sdwa v68, v53, s16 dst_sel:DWORD dst_unused:UNUSED_PAD src0_sel:WORD_1 src1_sel:DWORD
	v_fma_f16 v67, v53, s16, -v67
	v_add_f16_e32 v63, v67, v63
	v_fma_f16 v67, v51, s17, v68
	v_add_f16_e32 v64, v67, v64
	v_fma_f16 v67, v59, s21, -v84
	v_add_f16_e32 v45, v67, v45
	v_fma_f16 v67, v58, s33, v85
	v_add_f16_e32 v46, v67, v46
	;; [unrolled: 4-line block ×5, first 2 shown]
	v_mul_f16_sdwa v67, v58, s14 dst_sel:DWORD dst_unused:UNUSED_PAD src0_sel:WORD_1 src1_sel:DWORD
	v_add_f16_e32 v66, v70, v66
	v_fma_f16 v70, v51, s15, v68
	v_fma_f16 v68, v59, s11, v67
	v_add_f16_e32 v62, v68, v62
	v_mul_f16_sdwa v68, v59, s11 dst_sel:DWORD dst_unused:UNUSED_PAD src0_sel:WORD_1 src1_sel:DWORD
	v_fma_f16 v67, v59, s11, -v67
	v_add_f16_e32 v60, v67, v60
	v_fma_f16 v67, v58, s14, v68
	v_add_f16_e32 v61, v67, v61
	v_mul_f16_sdwa v67, v58, s18 dst_sel:DWORD dst_unused:UNUSED_PAD src0_sel:WORD_1 src1_sel:DWORD
	v_add_f16_e32 v69, v70, v69
	v_fma_f16 v70, v58, s10, v68
	v_fma_f16 v68, v59, s19, v67
	v_add_f16_e32 v65, v68, v65
	v_mul_f16_sdwa v68, v59, s19 dst_sel:DWORD dst_unused:UNUSED_PAD src0_sel:WORD_1 src1_sel:DWORD
	v_add_f16_e32 v66, v70, v66
	v_fma_f16 v70, v58, s29, v68
	v_add_f16_e32 v69, v70, v69
	v_pack_b32_f16 v65, v65, v69
	v_pack_b32_f16 v62, v62, v66
	v_pk_mul_f16 v22, v22, s28 op_sel_hi:[1,0]
	ds_write2_b32 v57, v62, v65 offset0:6 offset1:7
	v_pk_fma_f16 v62, v21, s27, v22 op_sel:[0,0,1] op_sel_hi:[1,0,0]
	v_pk_fma_f16 v21, v21, s27, v22 op_sel:[0,0,1] op_sel_hi:[1,0,0] neg_lo:[1,0,0] neg_hi:[1,0,0]
	v_alignbit_b32 v22, s0, v18, 16
	v_pk_mul_f16 v26, v26, s21 op_sel_hi:[1,0]
	v_alignbit_b32 v65, s0, v62, 16
	v_pk_add_f16 v22, v22, v62
	v_pk_fma_f16 v62, v25, s33, v26 op_sel:[0,0,1] op_sel_hi:[1,0,0]
	v_pk_add_f16 v21, v18, v21 op_sel:[1,0] op_sel_hi:[0,1]
	v_pk_fma_f16 v25, v25, s33, v26 op_sel:[0,0,1] op_sel_hi:[1,0,0] neg_lo:[1,0,0] neg_hi:[1,0,0]
	v_pk_add_f16 v21, v25, v21
	v_pk_mul_f16 v25, v30, s26 op_sel_hi:[1,0]
	v_pk_fma_f16 v26, v29, s25, v25 op_sel:[0,0,1] op_sel_hi:[1,0,0]
	v_pk_fma_f16 v25, v29, s25, v25 op_sel:[0,0,1] op_sel_hi:[1,0,0] neg_lo:[1,0,0] neg_hi:[1,0,0]
	v_pk_add_f16 v22, v62, v22
	v_pk_add_f16 v21, v25, v21
	v_pk_mul_f16 v25, v34, s16 op_sel_hi:[1,0]
	v_alignbit_b32 v30, s0, v26, 16
	v_pk_add_f16 v22, v26, v22
	v_pk_fma_f16 v26, v33, s17, v25 op_sel:[0,0,1] op_sel_hi:[1,0,0]
	v_pk_fma_f16 v25, v33, s17, v25 op_sel:[0,0,1] op_sel_hi:[1,0,0] neg_lo:[1,0,0] neg_hi:[1,0,0]
	v_pk_add_f16 v65, v18, v65
	v_alignbit_b32 v66, s0, v62, 16
	v_pk_add_f16 v21, v25, v21
	v_pk_mul_f16 v25, v42, s23 op_sel_hi:[1,0]
	v_pk_add_f16 v65, v66, v65
	v_alignbit_b32 v29, s0, v26, 16
	v_pk_add_f16 v22, v26, v22
	v_pk_fma_f16 v26, v41, s22, v25 op_sel:[0,0,1] op_sel_hi:[1,0,0]
	v_pk_fma_f16 v25, v41, s22, v25 op_sel:[0,0,1] op_sel_hi:[1,0,0] neg_lo:[1,0,0] neg_hi:[1,0,0]
	v_pk_add_f16 v30, v30, v65
	v_pk_add_f16 v21, v25, v21
	v_pk_mul_f16 v25, v50, s11 op_sel_hi:[1,0]
	v_bfi_b32 v19, s4, v20, v19
	v_pk_add_f16 v29, v29, v30
	v_alignbit_b32 v30, s0, v26, 16
	v_pk_add_f16 v22, v26, v22
	v_pk_fma_f16 v26, v49, s14, v25 op_sel:[0,0,1] op_sel_hi:[1,0,0]
	v_pk_fma_f16 v25, v49, s14, v25 op_sel:[0,0,1] op_sel_hi:[1,0,0] neg_lo:[1,0,0] neg_hi:[1,0,0]
	v_pk_add_f16 v18, v18, v19
	v_bfi_b32 v19, s4, v24, v23
	v_pk_add_f16 v21, v25, v21
	v_pk_mul_f16 v25, v53, s19 op_sel_hi:[1,0]
	v_pk_add_f16 v18, v19, v18
	v_bfi_b32 v19, s4, v28, v27
	v_pk_add_f16 v29, v30, v29
	v_alignbit_b32 v30, s0, v26, 16
	v_pk_add_f16 v22, v26, v22
	v_pk_fma_f16 v26, v51, s18, v25 op_sel:[0,0,1] op_sel_hi:[1,0,0]
	v_pk_fma_f16 v25, v51, s18, v25 op_sel:[0,0,1] op_sel_hi:[1,0,0] neg_lo:[1,0,0] neg_hi:[1,0,0]
	v_pk_add_f16 v18, v19, v18
	v_bfi_b32 v19, s4, v32, v31
	v_pk_add_f16 v21, v25, v21
	v_pk_mul_f16 v25, v59, s6 op_sel_hi:[1,0]
	v_pk_add_f16 v18, v19, v18
	v_bfi_b32 v19, s4, v40, v39
	v_pk_add_f16 v29, v30, v29
	v_alignbit_b32 v30, s0, v26, 16
	v_pk_add_f16 v22, v26, v22
	v_pk_fma_f16 v26, v58, s7, v25 op_sel:[0,0,1] op_sel_hi:[1,0,0]
	v_pk_add_f16 v18, v19, v18
	v_bfi_b32 v19, s4, v44, v43
	v_fma_f16 v67, v59, s19, -v67
	v_pk_add_f16 v29, v30, v29
	v_alignbit_b32 v30, s0, v26, 16
	v_pk_fma_f16 v25, v58, s7, v25 op_sel:[0,0,1] op_sel_hi:[1,0,0] neg_lo:[1,0,0] neg_hi:[1,0,0]
	v_pk_add_f16 v18, v19, v18
	v_bfi_b32 v0, s4, v3, v0
	v_add_f16_e32 v63, v67, v63
	v_fma_f16 v67, v58, s18, v68
	v_pk_add_f16 v29, v30, v29
	v_pk_add_f16 v21, v25, v21
	;; [unrolled: 1-line block ×4, first 2 shown]
	v_subrev_u32_e32 v18, 17, v4
	v_cmp_gt_u32_e64 s[0:1], 17, v4
	v_add_f16_e32 v64, v67, v64
	v_alignbit_b32 v22, v22, v21, 16
	v_pack_b32_f16 v21, v29, v21
	v_bfi_b32 v1, s4, v2, v1
	v_cndmask_b32_e64 v23, v18, v4, s[0:1]
	ds_write2_b32 v57, v21, v22 offset0:8 offset1:9
	v_pack_b32_f16 v21, v60, v61
	v_pack_b32_f16 v22, v63, v64
	v_pk_add_f16 v0, v1, v0
	v_lshlrev_b32_e32 v19, 4, v23
	v_mov_b32_e32 v20, 0
	ds_write2_b32 v57, v22, v21 offset0:10 offset1:11
	v_pack_b32_f16 v21, v52, v54
	v_pack_b32_f16 v22, v55, v56
	ds_write_b32 v57, v0 offset:64
	v_lshlrev_b64 v[0:1], 2, v[19:20]
	ds_write2_b32 v57, v22, v21 offset0:12 offset1:13
	v_pack_b32_f16 v21, v45, v46
	v_pack_b32_f16 v22, v47, v48
	ds_write2_b32 v57, v22, v21 offset0:14 offset1:15
	v_mov_b32_e32 v2, s9
	v_add_co_u32_e64 v21, s[2:3], s8, v0
	v_addc_co_u32_e64 v22, s[2:3], v2, v1, s[2:3]
	s_waitcnt lgkmcnt(0)
	s_barrier
	global_load_dwordx4 v[0:3], v[21:22], off
	global_load_dwordx4 v[27:30], v[21:22], off offset:16
	global_load_dwordx4 v[31:34], v[21:22], off offset:32
	;; [unrolled: 1-line block ×3, first 2 shown]
	v_lshl_add_u32 v46, v10, 2, v37
	v_lshl_add_u32 v42, v15, 2, v37
	;; [unrolled: 1-line block ×8, first 2 shown]
	ds_read_b32 v19, v42
	ds_read_b32 v21, v44
	ds_read_b32 v22, v43
	ds_read_b32 v24, v41
	ds_read_b32 v51, v40
	ds_read_b32 v52, v45
	ds_read_b32 v54, v39
	ds_read_b32 v58, v46
	s_waitcnt lgkmcnt(7)
	v_lshrrev_b32_e32 v53, 16, v19
	ds_read2_b32 v[25:26], v5 offset0:50 offset1:84
	ds_read_b32 v61, v35
	s_waitcnt lgkmcnt(8)
	v_lshrrev_b32_e32 v55, 16, v21
	s_waitcnt lgkmcnt(7)
	v_lshrrev_b32_e32 v56, 16, v22
	;; [unrolled: 2-line block ×3, first 2 shown]
	v_lshrrev_b32_e32 v57, 16, v24
	v_lshrrev_b32_e32 v59, 16, v51
	s_waitcnt lgkmcnt(1)
	v_lshrrev_b32_e32 v66, 16, v26
	v_lshrrev_b32_e32 v60, 16, v54
	v_cmp_lt_u32_e64 s[2:3], 16, v4
	v_lshlrev_b32_e32 v23, 2, v23
	s_waitcnt vmcnt(3)
	v_mul_f16_sdwa v63, v0, v62 dst_sel:DWORD dst_unused:UNUSED_PAD src0_sel:WORD_1 src1_sel:DWORD
	v_fma_f16 v63, v0, v58, v63
	v_mul_f16_sdwa v58, v0, v58 dst_sel:DWORD dst_unused:UNUSED_PAD src0_sel:WORD_1 src1_sel:DWORD
	v_fma_f16 v58, v0, v62, -v58
	v_lshrrev_b32_e32 v0, 16, v52
	v_mul_f16_sdwa v62, v1, v0 dst_sel:DWORD dst_unused:UNUSED_PAD src0_sel:WORD_1 src1_sel:DWORD
	v_fma_f16 v62, v1, v52, v62
	v_mul_f16_sdwa v52, v1, v52 dst_sel:DWORD dst_unused:UNUSED_PAD src0_sel:WORD_1 src1_sel:DWORD
	v_fma_f16 v52, v1, v0, -v52
	v_mul_f16_sdwa v0, v53, v2 dst_sel:DWORD dst_unused:UNUSED_PAD src0_sel:DWORD src1_sel:WORD_1
	v_fma_f16 v64, v19, v2, v0
	v_mul_f16_sdwa v0, v19, v2 dst_sel:DWORD dst_unused:UNUSED_PAD src0_sel:DWORD src1_sel:WORD_1
	v_fma_f16 v53, v53, v2, -v0
	v_mul_f16_sdwa v0, v55, v3 dst_sel:DWORD dst_unused:UNUSED_PAD src0_sel:DWORD src1_sel:WORD_1
	s_waitcnt vmcnt(2)
	v_mul_f16_sdwa v2, v56, v27 dst_sel:DWORD dst_unused:UNUSED_PAD src0_sel:DWORD src1_sel:WORD_1
	v_fma_f16 v65, v21, v3, v0
	v_mul_f16_sdwa v0, v21, v3 dst_sel:DWORD dst_unused:UNUSED_PAD src0_sel:DWORD src1_sel:WORD_1
	v_fma_f16 v67, v22, v27, v2
	v_mul_f16_sdwa v2, v22, v27 dst_sel:DWORD dst_unused:UNUSED_PAD src0_sel:DWORD src1_sel:WORD_1
	v_fma_f16 v55, v55, v3, -v0
	v_lshrrev_b32_e32 v21, 16, v25
	ds_read2_b32 v[0:1], v5 offset0:118 offset1:152
	v_fma_f16 v56, v56, v27, -v2
	v_mul_f16_sdwa v2, v57, v28 dst_sel:DWORD dst_unused:UNUSED_PAD src0_sel:DWORD src1_sel:WORD_1
	v_fma_f16 v27, v24, v28, v2
	v_mul_f16_sdwa v2, v24, v28 dst_sel:DWORD dst_unused:UNUSED_PAD src0_sel:DWORD src1_sel:WORD_1
	s_waitcnt vmcnt(1)
	v_mul_f16_sdwa v19, v21, v31 dst_sel:DWORD dst_unused:UNUSED_PAD src0_sel:DWORD src1_sel:WORD_1
	v_fma_f16 v28, v57, v28, -v2
	v_mul_f16_sdwa v2, v59, v29 dst_sel:DWORD dst_unused:UNUSED_PAD src0_sel:DWORD src1_sel:WORD_1
	v_fma_f16 v19, v25, v31, v19
	v_mul_f16_sdwa v25, v25, v31 dst_sel:DWORD dst_unused:UNUSED_PAD src0_sel:DWORD src1_sel:WORD_1
	v_fma_f16 v22, v51, v29, v2
	v_mul_f16_sdwa v2, v51, v29 dst_sel:DWORD dst_unused:UNUSED_PAD src0_sel:DWORD src1_sel:WORD_1
	v_fma_f16 v21, v21, v31, -v25
	v_mul_f16_sdwa v25, v66, v32 dst_sel:DWORD dst_unused:UNUSED_PAD src0_sel:DWORD src1_sel:WORD_1
	v_fma_f16 v24, v59, v29, -v2
	v_mul_f16_sdwa v2, v60, v30 dst_sel:DWORD dst_unused:UNUSED_PAD src0_sel:DWORD src1_sel:WORD_1
	v_mul_f16_sdwa v3, v54, v30 dst_sel:DWORD dst_unused:UNUSED_PAD src0_sel:DWORD src1_sel:WORD_1
	v_fma_f16 v25, v26, v32, v25
	v_mul_f16_sdwa v26, v26, v32 dst_sel:DWORD dst_unused:UNUSED_PAD src0_sel:DWORD src1_sel:WORD_1
	v_fma_f16 v2, v54, v30, v2
	v_fma_f16 v3, v60, v30, -v3
	s_waitcnt lgkmcnt(0)
	v_lshrrev_b32_e32 v30, 16, v0
	v_fma_f16 v26, v66, v32, -v26
	ds_read2_b32 v[31:32], v5 offset0:186 offset1:220
	v_mul_f16_sdwa v29, v30, v33 dst_sel:DWORD dst_unused:UNUSED_PAD src0_sel:DWORD src1_sel:WORD_1
	v_lshrrev_b32_e32 v51, 16, v1
	v_fma_f16 v29, v0, v33, v29
	v_mul_f16_sdwa v0, v0, v33 dst_sel:DWORD dst_unused:UNUSED_PAD src0_sel:DWORD src1_sel:WORD_1
	v_fma_f16 v30, v30, v33, -v0
	v_mul_f16_sdwa v0, v51, v34 dst_sel:DWORD dst_unused:UNUSED_PAD src0_sel:DWORD src1_sel:WORD_1
	v_fma_f16 v33, v1, v34, v0
	v_mul_f16_sdwa v0, v1, v34 dst_sel:DWORD dst_unused:UNUSED_PAD src0_sel:DWORD src1_sel:WORD_1
	v_fma_f16 v34, v51, v34, -v0
	s_waitcnt lgkmcnt(0)
	v_lshrrev_b32_e32 v0, 16, v31
	s_waitcnt vmcnt(0)
	v_mul_f16_sdwa v1, v0, v47 dst_sel:DWORD dst_unused:UNUSED_PAD src0_sel:DWORD src1_sel:WORD_1
	v_fma_f16 v54, v31, v47, v1
	v_mul_f16_sdwa v1, v31, v47 dst_sel:DWORD dst_unused:UNUSED_PAD src0_sel:DWORD src1_sel:WORD_1
	v_fma_f16 v31, v0, v47, -v1
	ds_read2_b32 v[0:1], v11 offset0:126 offset1:160
	v_lshrrev_b32_e32 v51, 16, v32
	v_mul_f16_sdwa v47, v51, v48 dst_sel:DWORD dst_unused:UNUSED_PAD src0_sel:DWORD src1_sel:WORD_1
	v_fma_f16 v47, v32, v48, v47
	v_mul_f16_sdwa v32, v32, v48 dst_sel:DWORD dst_unused:UNUSED_PAD src0_sel:DWORD src1_sel:WORD_1
	v_fma_f16 v32, v51, v48, -v32
	s_waitcnt lgkmcnt(0)
	v_lshrrev_b32_e32 v48, 16, v0
	v_mul_f16_sdwa v51, v0, v49 dst_sel:DWORD dst_unused:UNUSED_PAD src0_sel:DWORD src1_sel:WORD_1
	v_fma_f16 v51, v48, v49, -v51
	v_mul_f16_sdwa v48, v48, v49 dst_sel:DWORD dst_unused:UNUSED_PAD src0_sel:DWORD src1_sel:WORD_1
	v_fma_f16 v48, v0, v49, v48
	v_lshrrev_b32_e32 v0, 16, v1
	v_mul_f16_sdwa v49, v0, v50 dst_sel:DWORD dst_unused:UNUSED_PAD src0_sel:DWORD src1_sel:WORD_1
	v_fma_f16 v49, v1, v50, v49
	v_mul_f16_sdwa v1, v1, v50 dst_sel:DWORD dst_unused:UNUSED_PAD src0_sel:DWORD src1_sel:WORD_1
	v_fma_f16 v50, v0, v50, -v1
	v_add_f16_sdwa v1, v58, v61 dst_sel:DWORD dst_unused:UNUSED_PAD src0_sel:DWORD src1_sel:WORD_1
	v_add_f16_e32 v0, v63, v61
	v_add_f16_e32 v1, v1, v52
	;; [unrolled: 1-line block ×31, first 2 shown]
	v_sub_f16_e32 v50, v58, v50
	v_add_f16_e32 v0, v0, v49
	v_add_f16_e32 v57, v63, v49
	v_sub_f16_e32 v49, v63, v49
	v_mul_f16_e32 v58, 0xb5c8, v50
	v_mul_f16_e32 v63, 0xb964, v50
	;; [unrolled: 1-line block ×8, first 2 shown]
	v_fma_f16 v60, v57, s21, v58
	v_fma_f16 v58, v57, s21, -v58
	v_fma_f16 v66, v57, s16, v63
	v_fma_f16 v63, v57, s16, -v63
	;; [unrolled: 2-line block ×8, first 2 shown]
	v_mul_f16_e32 v57, 0x3b76, v59
	v_mul_f16_e32 v80, 0x39e9, v59
	;; [unrolled: 1-line block ×8, first 2 shown]
	v_fma_f16 v79, v49, s33, v57
	v_fma_f16 v57, v49, s20, v57
	;; [unrolled: 1-line block ×16, first 2 shown]
	v_add_f16_e32 v59, v60, v61
	v_add_f16_sdwa v60, v79, v61 dst_sel:DWORD dst_unused:UNUSED_PAD src0_sel:DWORD src1_sel:WORD_1
	v_add_f16_e32 v58, v58, v61
	v_add_f16_sdwa v57, v57, v61 dst_sel:DWORD dst_unused:UNUSED_PAD src0_sel:DWORD src1_sel:WORD_1
	;; [unrolled: 2-line block ×16, first 2 shown]
	v_add_f16_e32 v61, v62, v48
	v_sub_f16_e32 v48, v62, v48
	v_add_f16_e32 v62, v52, v51
	v_sub_f16_e32 v51, v52, v51
	v_mul_f16_e32 v52, 0xb964, v51
	v_fma_f16 v92, v61, s16, v52
	v_add_f16_e32 v59, v92, v59
	v_mul_f16_e32 v92, 0x39e9, v62
	v_fma_f16 v52, v61, s16, -v52
	v_add_f16_e32 v52, v52, v58
	v_fma_f16 v58, v48, s15, v92
	v_add_f16_e32 v57, v58, v57
	v_mul_f16_e32 v58, 0xbbf7, v51
	v_fma_f16 v93, v48, s17, v92
	v_fma_f16 v92, v61, s6, v58
	v_add_f16_e32 v66, v92, v66
	v_mul_f16_e32 v92, 0x2de8, v62
	v_fma_f16 v58, v61, s6, -v58
	v_add_f16_e32 v58, v58, v63
	v_fma_f16 v63, v48, s5, v92
	v_add_f16_e32 v63, v63, v80
	v_mul_f16_e32 v80, 0xba62, v51
	v_add_f16_e32 v60, v93, v60
	v_fma_f16 v93, v48, s7, v92
	v_fma_f16 v92, v61, s23, v80
	v_add_f16_e32 v69, v92, v69
	v_mul_f16_e32 v92, 0xb8d2, v62
	v_fma_f16 v80, v61, s23, -v80
	v_add_f16_e32 v68, v80, v68
	v_fma_f16 v80, v48, s22, v92
	v_add_f16_e32 v80, v80, v82
	v_mul_f16_e32 v82, 0xb1e1, v51
	v_add_f16_e32 v79, v93, v79
	;; [unrolled: 10-line block ×5, first 2 shown]
	v_fma_f16 v93, v48, s18, v92
	v_fma_f16 v92, v61, s11, v88
	v_add_f16_e32 v77, v92, v77
	v_mul_f16_e32 v92, 0x3722, v62
	v_fma_f16 v88, v61, s11, -v88
	v_add_f16_e32 v76, v88, v76
	v_fma_f16 v88, v48, s14, v92
	v_mul_f16_e32 v51, 0x35c8, v51
	v_add_f16_e32 v88, v88, v90
	v_fma_f16 v90, v61, s21, v51
	v_mul_f16_e32 v62, 0x3b76, v62
	v_fma_f16 v51, v61, s21, -v51
	v_add_f16_e32 v87, v93, v87
	v_fma_f16 v93, v48, s10, v92
	v_add_f16_e32 v78, v90, v78
	v_fma_f16 v90, v48, s20, v62
	;; [unrolled: 2-line block ×3, first 2 shown]
	v_add_f16_e32 v51, v53, v32
	v_sub_f16_e32 v32, v53, v32
	v_add_f16_e32 v48, v48, v49
	v_add_f16_e32 v49, v64, v47
	v_mul_f16_e32 v53, 0xbb29, v32
	v_fma_f16 v61, v49, s11, v53
	v_sub_f16_e32 v47, v64, v47
	v_add_f16_e32 v59, v61, v59
	v_mul_f16_e32 v61, 0x3722, v51
	v_fma_f16 v53, v49, s11, -v53
	v_add_f16_e32 v52, v53, v52
	v_fma_f16 v53, v47, s10, v61
	v_fma_f16 v62, v47, s14, v61
	v_add_f16_e32 v53, v53, v57
	v_mul_f16_e32 v57, 0xba62, v32
	v_add_f16_e32 v60, v62, v60
	v_fma_f16 v61, v49, s23, v57
	v_mul_f16_e32 v62, 0xb8d2, v51
	v_fma_f16 v57, v49, s23, -v57
	v_fma_f16 v64, v47, s24, v62
	v_add_f16_e32 v57, v57, v58
	v_fma_f16 v58, v47, s22, v62
	v_mul_f16_e32 v62, 0x31e1, v32
	v_add_f16_e32 v58, v58, v63
	v_fma_f16 v63, v49, s28, v62
	v_fma_f16 v62, v49, s28, -v62
	v_add_f16_e32 v62, v62, v68
	v_mul_f16_e32 v68, 0x3bb2, v32
	v_add_f16_e32 v61, v61, v66
	v_add_f16_e32 v64, v64, v79
	v_mul_f16_e32 v66, 0xbbdd, v51
	v_fma_f16 v79, v49, s19, v68
	v_add_f16_e32 v63, v63, v69
	v_fma_f16 v69, v47, s27, v66
	v_fma_f16 v66, v47, s31, v66
	v_add_f16_e32 v71, v79, v71
	v_mul_f16_e32 v79, 0xb461, v51
	v_fma_f16 v68, v49, s19, -v68
	v_add_f16_e32 v66, v66, v80
	v_fma_f16 v80, v47, s18, v79
	v_add_f16_e32 v68, v68, v70
	v_fma_f16 v70, v47, s29, v79
	v_mul_f16_e32 v79, 0x3964, v32
	v_add_f16_e32 v69, v69, v81
	v_fma_f16 v81, v49, s16, v79
	v_add_f16_e32 v73, v81, v73
	v_mul_f16_e32 v81, 0x39e9, v51
	v_fma_f16 v79, v49, s16, -v79
	v_add_f16_e32 v70, v70, v82
	v_fma_f16 v82, v47, s15, v81
	v_add_f16_e32 v72, v79, v72
	v_fma_f16 v79, v47, s17, v81
	v_mul_f16_e32 v81, 0xb5c8, v32
	v_add_f16_e32 v80, v80, v83
	;; [unrolled: 10-line block ×3, first 2 shown]
	v_fma_f16 v85, v49, s6, v83
	v_add_f16_e32 v77, v85, v77
	v_mul_f16_e32 v85, 0x2de8, v51
	v_fma_f16 v83, v49, s6, -v83
	v_mul_f16_e32 v32, 0xb836, v32
	v_add_f16_e32 v81, v81, v86
	v_fma_f16 v86, v47, s7, v85
	v_add_f16_e32 v76, v83, v76
	v_fma_f16 v83, v47, s5, v85
	v_fma_f16 v85, v49, s26, v32
	v_mul_f16_e32 v51, 0xbacd, v51
	v_fma_f16 v32, v49, s26, -v32
	v_add_f16_e32 v78, v85, v78
	v_fma_f16 v85, v47, s30, v51
	v_add_f16_e32 v32, v32, v50
	v_fma_f16 v47, v47, s25, v51
	v_add_f16_e32 v50, v55, v31
	v_sub_f16_e32 v31, v55, v31
	v_add_f16_e32 v47, v47, v48
	v_add_f16_e32 v48, v65, v54
	v_mul_f16_e32 v51, 0xbbf7, v31
	v_sub_f16_e32 v49, v65, v54
	v_fma_f16 v54, v48, s6, v51
	v_mul_f16_e32 v55, 0x2de8, v50
	v_fma_f16 v51, v48, s6, -v51
	v_add_f16_e32 v51, v51, v52
	v_fma_f16 v52, v49, s5, v55
	v_add_f16_e32 v54, v54, v59
	v_fma_f16 v59, v49, s7, v55
	v_add_f16_e32 v52, v52, v53
	v_mul_f16_e32 v53, 0xb1e1, v31
	v_add_f16_e32 v59, v59, v60
	v_fma_f16 v55, v48, s28, v53
	v_mul_f16_e32 v60, 0xbbdd, v50
	v_fma_f16 v53, v48, s28, -v53
	v_add_f16_e32 v53, v53, v57
	v_fma_f16 v57, v49, s27, v60
	v_add_f16_e32 v57, v57, v58
	v_mul_f16_e32 v58, 0x3bb2, v31
	v_add_f16_e32 v55, v55, v61
	v_fma_f16 v61, v49, s31, v60
	v_fma_f16 v60, v48, s19, v58
	v_add_f16_e32 v60, v60, v63
	v_mul_f16_e32 v63, 0xb461, v50
	v_fma_f16 v58, v48, s19, -v58
	v_add_f16_e32 v61, v61, v64
	v_fma_f16 v64, v49, s18, v63
	v_add_f16_e32 v58, v58, v62
	v_fma_f16 v62, v49, s29, v63
	v_mul_f16_e32 v63, 0x35c8, v31
	v_add_f16_e32 v62, v62, v66
	v_fma_f16 v65, v48, s21, v63
	v_mul_f16_e32 v66, 0x3b76, v50
	v_fma_f16 v63, v48, s21, -v63
	v_add_f16_e32 v64, v64, v69
	v_fma_f16 v69, v49, s20, v66
	v_add_f16_e32 v63, v63, v68
	v_fma_f16 v66, v49, s33, v66
	v_mul_f16_e32 v68, 0xbb29, v31
	v_add_f16_e32 v65, v65, v71
	v_add_f16_e32 v66, v66, v70
	v_fma_f16 v70, v48, s11, v68
	v_mul_f16_e32 v71, 0x3722, v50
	v_fma_f16 v68, v48, s11, -v68
	v_add_f16_e32 v70, v70, v73
	v_fma_f16 v73, v49, s14, v71
	v_add_f16_e32 v68, v68, v72
	v_fma_f16 v71, v49, s10, v71
	v_mul_f16_e32 v72, 0xb836, v31
	v_add_f16_e32 v71, v71, v79
	v_fma_f16 v79, v48, s26, v72
	v_add_f16_e32 v75, v79, v75
	v_mul_f16_e32 v79, 0xbacd, v50
	v_fma_f16 v72, v48, s26, -v72
	v_add_f16_e32 v69, v69, v80
	v_fma_f16 v80, v49, s30, v79
	v_add_f16_e32 v72, v72, v74
	v_fma_f16 v74, v49, s25, v79
	v_mul_f16_e32 v79, 0x3a62, v31
	v_add_f16_e32 v74, v74, v81
	v_fma_f16 v81, v48, s23, v79
	v_add_f16_e32 v77, v81, v77
	v_mul_f16_e32 v81, 0xb8d2, v50
	v_fma_f16 v79, v48, s23, -v79
	v_mul_f16_e32 v31, 0x3964, v31
	v_add_f16_e32 v73, v73, v82
	v_fma_f16 v82, v49, s22, v81
	v_add_f16_e32 v76, v79, v76
	v_fma_f16 v79, v49, s24, v81
	v_fma_f16 v81, v48, s16, v31
	v_mul_f16_e32 v50, 0x39e9, v50
	v_fma_f16 v31, v48, s16, -v31
	v_add_f16_e32 v31, v31, v32
	v_fma_f16 v32, v49, s17, v50
	v_add_f16_e32 v48, v56, v34
	v_sub_f16_e32 v34, v56, v34
	v_add_f16_e32 v78, v81, v78
	v_fma_f16 v81, v49, s15, v50
	v_add_f16_e32 v32, v32, v47
	v_add_f16_e32 v47, v67, v33
	v_mul_f16_e32 v49, 0xbbb2, v34
	v_fma_f16 v50, v47, s19, v49
	v_sub_f16_e32 v33, v67, v33
	v_add_f16_e32 v50, v50, v54
	v_mul_f16_e32 v54, 0xb461, v48
	v_fma_f16 v49, v47, s19, -v49
	v_add_f16_e32 v49, v49, v51
	v_fma_f16 v51, v33, s18, v54
	v_add_f16_e32 v51, v51, v52
	v_mul_f16_e32 v52, 0x3836, v34
	v_fma_f16 v56, v33, s29, v54
	v_fma_f16 v54, v47, s26, v52
	v_add_f16_e32 v54, v54, v55
	v_mul_f16_e32 v55, 0xbacd, v48
	v_fma_f16 v52, v47, s26, -v52
	v_add_f16_e32 v56, v56, v59
	v_fma_f16 v59, v33, s25, v55
	v_add_f16_e32 v52, v52, v53
	v_fma_f16 v53, v33, s30, v55
	v_mul_f16_e32 v55, 0x3964, v34
	v_add_f16_e32 v53, v53, v57
	v_fma_f16 v57, v47, s16, v55
	v_add_f16_e32 v57, v57, v60
	v_mul_f16_e32 v60, 0x39e9, v48
	v_fma_f16 v55, v47, s16, -v55
	v_add_f16_e32 v59, v59, v61
	v_fma_f16 v61, v33, s15, v60
	v_add_f16_e32 v55, v55, v58
	v_fma_f16 v58, v33, s17, v60
	v_mul_f16_e32 v60, 0xbb29, v34
	v_add_f16_e32 v61, v61, v64
	v_add_f16_e32 v58, v58, v62
	v_fma_f16 v62, v47, s11, v60
	v_mul_f16_e32 v64, 0x3722, v48
	v_fma_f16 v60, v47, s11, -v60
	v_add_f16_e32 v62, v62, v65
	v_fma_f16 v65, v33, s14, v64
	v_add_f16_e32 v60, v60, v63
	v_fma_f16 v63, v33, s10, v64
	v_mul_f16_e32 v64, 0xb1e1, v34
	v_add_f16_e32 v63, v63, v66
	v_fma_f16 v66, v47, s28, v64
	v_mul_f16_e32 v67, 0xbbdd, v48
	v_fma_f16 v64, v47, s28, -v64
	v_add_f16_e32 v65, v65, v69
	v_fma_f16 v69, v33, s31, v67
	v_add_f16_e32 v64, v64, v68
	v_fma_f16 v67, v33, s27, v67
	v_mul_f16_e32 v68, 0x3bf7, v34
	v_add_f16_e32 v66, v66, v70
	v_add_f16_e32 v67, v67, v71
	v_fma_f16 v70, v47, s6, v68
	v_mul_f16_e32 v71, 0x2de8, v48
	v_fma_f16 v68, v47, s6, -v68
	v_add_f16_e32 v69, v69, v73
	v_fma_f16 v73, v33, s5, v71
	v_add_f16_e32 v68, v68, v72
	v_fma_f16 v71, v33, s7, v71
	v_mul_f16_e32 v72, 0xb5c8, v34
	v_add_f16_e32 v71, v71, v74
	v_fma_f16 v74, v47, s21, v72
	v_fma_f16 v72, v47, s21, -v72
	v_mul_f16_e32 v34, 0xba62, v34
	v_add_f16_e32 v70, v70, v75
	v_mul_f16_e32 v75, 0x3b76, v48
	v_add_f16_e32 v72, v72, v76
	v_fma_f16 v76, v47, s23, v34
	v_mul_f16_e32 v48, 0xb8d2, v48
	v_add_f16_e32 v74, v74, v77
	v_fma_f16 v77, v33, s33, v75
	v_fma_f16 v75, v33, s20, v75
	v_add_f16_e32 v76, v76, v78
	v_fma_f16 v78, v33, s24, v48
	v_fma_f16 v33, v33, s22, v48
	v_add_f16_e32 v32, v33, v32
	v_add_f16_e32 v33, v27, v29
	v_sub_f16_e32 v27, v27, v29
	v_add_f16_e32 v29, v28, v30
	v_sub_f16_e32 v28, v28, v30
	v_fma_f16 v34, v47, s23, -v34
	v_mul_f16_e32 v30, 0xba62, v28
	v_add_f16_e32 v31, v34, v31
	v_fma_f16 v34, v33, s23, v30
	v_mul_f16_e32 v47, 0xb8d2, v29
	v_fma_f16 v30, v33, s23, -v30
	v_fma_f16 v48, v27, s24, v47
	v_add_f16_e32 v30, v30, v49
	v_fma_f16 v47, v27, s22, v47
	v_mul_f16_e32 v49, 0x3bb2, v28
	v_add_f16_e32 v34, v34, v50
	v_add_f16_e32 v47, v47, v51
	v_fma_f16 v50, v33, s19, v49
	v_mul_f16_e32 v51, 0xb461, v29
	v_fma_f16 v49, v33, s19, -v49
	v_add_f16_e32 v50, v50, v54
	v_fma_f16 v54, v27, s18, v51
	v_add_f16_e32 v49, v49, v52
	v_fma_f16 v51, v27, s29, v51
	v_mul_f16_e32 v52, 0xb5c8, v28
	v_add_f16_e32 v48, v48, v56
	v_add_f16_e32 v51, v51, v53
	v_fma_f16 v53, v33, s21, v52
	v_mul_f16_e32 v56, 0x3b76, v29
	v_fma_f16 v52, v33, s21, -v52
	v_add_f16_e32 v53, v53, v57
	;; [unrolled: 10-line block ×4, first 2 shown]
	v_fma_f16 v65, v27, s5, v63
	v_add_f16_e32 v60, v60, v64
	v_fma_f16 v63, v27, s7, v63
	v_mul_f16_e32 v64, 0xb964, v28
	v_add_f16_e32 v84, v84, v87
	v_add_f16_e32 v62, v62, v66
	;; [unrolled: 1-line block ×3, first 2 shown]
	v_fma_f16 v66, v33, s16, v64
	v_mul_f16_e32 v67, 0x39e9, v29
	v_fma_f16 v64, v33, s16, -v64
	v_add_f16_e32 v80, v80, v84
	v_add_f16_e32 v65, v65, v69
	v_fma_f16 v69, v27, s17, v67
	v_add_f16_e32 v64, v64, v68
	v_fma_f16 v67, v27, s15, v67
	v_mul_f16_e32 v68, 0xb1e1, v28
	v_add_f16_e32 v73, v73, v80
	v_add_f16_e32 v66, v66, v70
	;; [unrolled: 1-line block ×3, first 2 shown]
	v_fma_f16 v70, v33, s28, v68
	v_mul_f16_e32 v71, 0xbbdd, v29
	v_mul_f16_e32 v29, 0x3722, v29
	v_add_f16_e32 v69, v69, v73
	v_add_f16_e32 v70, v70, v74
	v_fma_f16 v73, v27, s31, v71
	v_fma_f16 v68, v33, s28, -v68
	v_fma_f16 v71, v27, s27, v71
	v_mul_f16_e32 v28, 0x3b29, v28
	v_fma_f16 v74, v27, s10, v29
	v_fma_f16 v27, v27, s14, v29
	v_add_f16_e32 v29, v22, v25
	v_sub_f16_e32 v22, v22, v25
	v_add_f16_e32 v25, v24, v26
	v_sub_f16_e32 v24, v24, v26
	v_add_f16_e32 v68, v68, v72
	v_fma_f16 v72, v33, s11, v28
	v_fma_f16 v28, v33, s11, -v28
	v_mul_f16_e32 v26, 0xb836, v24
	v_add_f16_e32 v28, v28, v31
	v_add_f16_e32 v27, v27, v32
	v_fma_f16 v31, v29, s26, v26
	v_mul_f16_e32 v32, 0xbacd, v25
	v_fma_f16 v26, v29, s26, -v26
	v_add_f16_e32 v26, v26, v30
	v_fma_f16 v30, v22, s25, v32
	v_fma_f16 v33, v22, s30, v32
	v_add_f16_e32 v30, v30, v47
	v_mul_f16_e32 v32, 0x3b29, v24
	v_mul_f16_e32 v47, 0x3722, v25
	v_add_f16_e32 v31, v31, v34
	v_add_f16_e32 v33, v33, v48
	v_fma_f16 v34, v29, s11, v32
	v_fma_f16 v48, v22, s10, v47
	v_fma_f16 v32, v29, s11, -v32
	v_fma_f16 v47, v22, s14, v47
	v_add_f16_e32 v32, v32, v49
	v_add_f16_e32 v49, v47, v51
	v_mul_f16_e32 v47, 0xbbf7, v24
	v_add_f16_e32 v34, v34, v50
	v_add_f16_e32 v50, v48, v54
	v_fma_f16 v48, v29, s6, v47
	v_add_f16_e32 v51, v48, v53
	v_mul_f16_e32 v48, 0x2de8, v25
	v_fma_f16 v47, v29, s6, -v47
	v_add_f16_e32 v52, v47, v52
	v_fma_f16 v47, v22, s5, v48
	v_add_f16_e32 v54, v47, v55
	v_mul_f16_e32 v47, 0x3a62, v24
	v_fma_f16 v53, v22, s7, v48
	v_fma_f16 v48, v29, s23, v47
	v_add_f16_e32 v89, v93, v89
	v_add_f16_e32 v55, v48, v58
	v_mul_f16_e32 v48, 0xb8d2, v25
	v_fma_f16 v47, v29, s23, -v47
	v_add_f16_e32 v90, v90, v91
	v_add_f16_e32 v86, v86, v89
	;; [unrolled: 1-line block ×3, first 2 shown]
	v_fma_f16 v47, v22, s24, v48
	v_add_f16_e32 v85, v85, v90
	v_add_f16_e32 v82, v82, v86
	;; [unrolled: 1-line block ×4, first 2 shown]
	v_mul_f16_e32 v47, 0xb5c8, v24
	v_add_f16_e32 v81, v81, v85
	v_add_f16_e32 v77, v77, v82
	;; [unrolled: 1-line block ×3, first 2 shown]
	v_fma_f16 v57, v22, s22, v48
	v_fma_f16 v48, v29, s21, v47
	v_add_f16_e32 v83, v83, v88
	v_add_f16_e32 v78, v78, v81
	;; [unrolled: 1-line block ×4, first 2 shown]
	v_mul_f16_e32 v48, 0x3b76, v25
	v_fma_f16 v47, v29, s21, -v47
	v_add_f16_e32 v79, v79, v83
	v_add_f16_e32 v74, v74, v78
	;; [unrolled: 1-line block ×3, first 2 shown]
	v_fma_f16 v47, v22, s20, v48
	v_add_f16_e32 v75, v75, v79
	v_add_f16_e32 v63, v47, v63
	v_mul_f16_e32 v47, 0xb1e1, v24
	v_add_f16_e32 v71, v71, v75
	v_add_f16_e32 v75, v57, v61
	v_fma_f16 v57, v22, s33, v48
	v_fma_f16 v48, v29, s28, v47
	v_add_f16_e32 v66, v48, v66
	v_mul_f16_e32 v48, 0xbbdd, v25
	v_fma_f16 v47, v29, s28, -v47
	v_add_f16_e32 v64, v47, v64
	v_fma_f16 v47, v22, s27, v48
	v_add_f16_e32 v67, v47, v67
	v_mul_f16_e32 v47, 0x3964, v24
	v_add_f16_e32 v65, v57, v65
	v_fma_f16 v57, v22, s31, v48
	v_fma_f16 v48, v29, s16, v47
	v_add_f16_e32 v70, v48, v70
	v_mul_f16_e32 v48, 0x39e9, v25
	v_fma_f16 v47, v29, s16, -v47
	v_sub_f16_e32 v84, v3, v21
	v_add_f16_e32 v68, v47, v68
	v_fma_f16 v47, v22, s17, v48
	v_mul_f16_e32 v24, 0xbbb2, v24
	v_add_f16_e32 v81, v2, v19
	v_sub_f16_e32 v82, v2, v19
	v_mul_f16_e32 v2, 0xb1e1, v84
	v_add_f16_e32 v71, v47, v71
	v_fma_f16 v47, v29, s19, v24
	v_mul_f16_e32 v25, 0xb461, v25
	v_add_f16_e32 v83, v3, v21
	v_fma_f16 v3, v81, s28, v2
	v_add_f16_e32 v72, v47, v72
	v_fma_f16 v47, v22, s29, v25
	v_add_f16_e32 v61, v3, v31
	v_mul_f16_e32 v3, 0xbbdd, v83
	v_fma_f16 v2, v81, s28, -v2
	v_add_f16_e32 v74, v47, v74
	v_add_f16_e32 v47, v2, v26
	v_fma_f16 v2, v82, s27, v3
	v_add_f16_e32 v69, v57, v69
	v_fma_f16 v57, v22, s15, v48
	v_add_f16_e32 v48, v2, v30
	v_mul_f16_e32 v2, 0x35c8, v84
	v_fma_f16 v19, v82, s31, v3
	v_fma_f16 v3, v81, s21, v2
	v_add_f16_e32 v73, v57, v73
	v_add_f16_e32 v57, v3, v34
	v_mul_f16_e32 v3, 0x3b76, v83
	v_add_f16_e32 v62, v19, v33
	v_fma_f16 v19, v82, s20, v3
	v_add_f16_e32 v58, v19, v50
	v_mul_f16_e32 v19, 0xb836, v84
	v_fma_f16 v21, v81, s26, v19
	v_fma_f16 v22, v22, s18, v25
	v_add_f16_e32 v59, v21, v51
	v_mul_f16_e32 v21, 0xbacd, v83
	v_add_f16_e32 v80, v22, v27
	v_fma_f16 v22, v82, s30, v21
	v_fma_f16 v24, v29, s19, -v24
	v_add_f16_e32 v60, v22, v53
	v_mul_f16_e32 v22, 0x3964, v84
	v_add_f16_e32 v79, v24, v28
	v_fma_f16 v24, v81, s16, v22
	v_add_f16_e32 v53, v24, v55
	v_mul_f16_e32 v24, 0x39e9, v83
	v_fma_f16 v21, v82, s25, v21
	v_fma_f16 v25, v82, s15, v24
	v_add_f16_e32 v21, v21, v54
	v_add_f16_e32 v54, v25, v75
	v_mul_f16_e32 v25, 0xba62, v84
	v_fma_f16 v26, v81, s23, v25
	v_add_f16_e32 v55, v26, v77
	v_mul_f16_e32 v26, 0xb8d2, v83
	v_fma_f16 v22, v81, s16, -v22
	v_fma_f16 v27, v82, s24, v26
	v_add_f16_e32 v22, v22, v56
	v_add_f16_e32 v56, v27, v65
	v_mul_f16_e32 v27, 0x3b29, v84
	v_fma_f16 v3, v82, s33, v3
	v_fma_f16 v28, v81, s11, v27
	v_add_f16_e32 v3, v3, v49
	v_fma_f16 v26, v82, s22, v26
	v_add_f16_e32 v49, v28, v66
	v_mul_f16_e32 v28, 0x3722, v83
	v_add_f16_e32 v26, v26, v63
	v_fma_f16 v29, v82, s10, v28
	v_mov_b32_e32 v63, 0x484
	v_add_f16_e32 v50, v29, v69
	v_mul_f16_e32 v29, 0xbbb2, v84
	v_cndmask_b32_e64 v63, 0, v63, s[2:3]
	v_fma_f16 v30, v81, s19, v29
	v_add_u32_e32 v63, 0, v63
	v_add_f16_e32 v51, v30, v70
	v_mul_f16_e32 v30, 0xb461, v83
	v_add3_u32 v17, v63, v23, v17
	v_pack_b32_f16 v0, v0, v1
	v_pack_b32_f16 v1, v61, v62
	v_fma_f16 v2, v81, s21, -v2
	v_fma_f16 v19, v81, s26, -v19
	v_fma_f16 v31, v82, s29, v30
	v_mul_f16_e32 v33, 0x3bf7, v84
	v_mul_f16_e32 v34, 0x2de8, v83
	s_barrier
	ds_write2_b32 v17, v0, v1 offset1:17
	v_pack_b32_f16 v0, v57, v58
	v_pack_b32_f16 v1, v59, v60
	v_add_f16_e32 v2, v2, v32
	v_add_f16_e32 v19, v19, v52
	;; [unrolled: 1-line block ×3, first 2 shown]
	v_fma_f16 v31, v81, s6, v33
	v_fma_f16 v32, v82, s5, v34
	v_fma_f16 v33, v81, s6, -v33
	v_fma_f16 v34, v82, s7, v34
	ds_write2_b32 v17, v0, v1 offset0:34 offset1:51
	v_pack_b32_f16 v0, v53, v54
	v_pack_b32_f16 v1, v55, v56
	v_fma_f16 v27, v81, s11, -v27
	v_fma_f16 v28, v82, s14, v28
	v_fma_f16 v29, v81, s19, -v29
	v_fma_f16 v30, v82, s18, v30
	v_add_f16_e32 v31, v31, v72
	v_add_f16_e32 v32, v32, v74
	;; [unrolled: 1-line block ×4, first 2 shown]
	ds_write2_b32 v17, v0, v1 offset0:68 offset1:85
	v_pack_b32_f16 v0, v49, v50
	v_pack_b32_f16 v1, v51, v52
	v_fma_f16 v24, v82, s17, v24
	v_fma_f16 v25, v81, s23, -v25
	v_add_f16_e32 v27, v27, v64
	v_add_f16_e32 v28, v28, v67
	;; [unrolled: 1-line block ×4, first 2 shown]
	ds_write2_b32 v17, v0, v1 offset0:102 offset1:119
	v_pack_b32_f16 v0, v31, v32
	v_pack_b32_f16 v1, v33, v34
	v_add_f16_e32 v24, v24, v76
	v_add_f16_e32 v25, v25, v78
	ds_write2_b32 v17, v0, v1 offset0:136 offset1:153
	v_pack_b32_f16 v0, v29, v30
	v_pack_b32_f16 v1, v27, v28
	ds_write2_b32 v17, v0, v1 offset0:170 offset1:187
	v_pack_b32_f16 v0, v25, v26
	v_pack_b32_f16 v1, v22, v24
	;; [unrolled: 3-line block ×3, first 2 shown]
	ds_write2_b32 v17, v0, v1 offset0:238 offset1:255
	v_pack_b32_f16 v0, v47, v48
	ds_write_b32 v17, v0 offset:1088
	s_waitcnt lgkmcnt(0)
	s_barrier
	ds_read2_b32 v[27:28], v5 offset0:33 offset1:67
	ds_read2_b32 v[29:30], v5 offset0:101 offset1:135
	;; [unrolled: 1-line block ×4, first 2 shown]
	ds_read_b32 v51, v35
	ds_read_b32 v52, v46
	;; [unrolled: 1-line block ×8, first 2 shown]
                                        ; implicit-def: $vgpr50
                                        ; implicit-def: $vgpr49
	s_and_saveexec_b64 s[2:3], s[0:1]
	s_cbranch_execz .LBB0_14
; %bb.13:
	ds_read_b32 v47, v39
	ds_read_b32 v49, v38 offset:2244
	v_mov_b32_e32 v18, v8
	s_waitcnt lgkmcnt(1)
	v_lshrrev_b32_e32 v48, 16, v47
	s_waitcnt lgkmcnt(0)
	v_lshrrev_b32_e32 v50, 16, v49
.LBB0_14:
	s_or_b64 exec, exec, s[2:3]
	v_mov_b32_e32 v11, v20
	v_lshlrev_b64 v[0:1], 2, v[10:11]
	v_mov_b32_e32 v58, s9
	v_add_co_u32_e64 v21, s[2:3], s8, v0
	v_mov_b32_e32 v17, v20
	v_addc_co_u32_e64 v22, s[2:3], v58, v1, s[2:3]
	v_lshlrev_b64 v[0:1], 2, v[16:17]
	v_mov_b32_e32 v16, v20
	v_add_co_u32_e64 v23, s[2:3], s8, v0
	v_addc_co_u32_e64 v24, s[2:3], v58, v1, s[2:3]
	v_lshlrev_b64 v[0:1], 2, v[15:16]
	v_mov_b32_e32 v15, v20
	v_add_co_u32_e64 v16, s[2:3], s8, v0
	;; [unrolled: 4-line block ×5, first 2 shown]
	v_addc_co_u32_e64 v12, s[2:3], v58, v1, s[2:3]
	v_lshlrev_b64 v[0:1], 2, v[4:5]
	global_load_dword v13, v[11:12], off offset:1088
	global_load_dword v59, v[14:15], off offset:1088
	;; [unrolled: 1-line block ×6, first 2 shown]
	v_add_co_u32_e64 v33, s[2:3], s8, v0
	v_addc_co_u32_e64 v34, s[2:3], v58, v1, s[2:3]
	global_load_dword v5, v[33:34], off offset:1088
	v_mov_b32_e32 v10, v20
	v_lshlrev_b64 v[9:10], 2, v[9:10]
	v_add_co_u32_e64 v9, s[2:3], s8, v9
	v_addc_co_u32_e64 v10, s[2:3], v58, v10, s[2:3]
	global_load_dword v20, v[9:10], off offset:1088
	s_waitcnt vmcnt(0) lgkmcnt(0)
	s_barrier
	v_pk_mul_f16 v58, v13, v25 op_sel:[0,1]
	v_pk_fma_f16 v69, v13, v25, v58 op_sel:[0,0,1] op_sel_hi:[1,1,0]
	v_pk_fma_f16 v13, v13, v25, v58 op_sel:[0,0,1] op_sel_hi:[1,0,0] neg_lo:[1,0,0] neg_hi:[1,0,0]
	v_pk_mul_f16 v64, v59, v32 op_sel:[0,1]
	v_bfi_b32 v13, s4, v69, v13
	v_pk_mul_f16 v65, v60, v31 op_sel:[0,1]
	v_pk_fma_f16 v25, v59, v32, v64 op_sel:[0,0,1] op_sel_hi:[1,1,0]
	v_pk_fma_f16 v32, v59, v32, v64 op_sel:[0,0,1] op_sel_hi:[1,0,0] neg_lo:[1,0,0] neg_hi:[1,0,0]
	v_pk_add_f16 v13, v57, v13 neg_lo:[0,1] neg_hi:[0,1]
	v_pk_fma_f16 v58, v60, v31, v65 op_sel:[0,0,1] op_sel_hi:[1,1,0]
	v_pk_fma_f16 v31, v60, v31, v65 op_sel:[0,0,1] op_sel_hi:[1,0,0] neg_lo:[1,0,0] neg_hi:[1,0,0]
	v_bfi_b32 v25, s4, v25, v32
	v_pk_fma_f16 v32, v57, 2.0, v13 op_sel_hi:[1,0,1] neg_lo:[0,0,1] neg_hi:[0,0,1]
	v_pk_mul_f16 v57, v5, v27 op_sel:[0,1]
	v_pk_mul_f16 v66, v61, v30 op_sel:[0,1]
	;; [unrolled: 1-line block ×4, first 2 shown]
	v_bfi_b32 v31, s4, v58, v31
	v_pk_fma_f16 v58, v5, v27, v57 op_sel:[0,0,1] op_sel_hi:[1,1,0]
	v_pk_fma_f16 v5, v5, v27, v57 op_sel:[0,0,1] op_sel_hi:[1,0,0] neg_lo:[1,0,0] neg_hi:[1,0,0]
	v_pk_fma_f16 v59, v61, v30, v66 op_sel:[0,0,1] op_sel_hi:[1,1,0]
	v_pk_fma_f16 v30, v61, v30, v66 op_sel:[0,0,1] op_sel_hi:[1,0,0] neg_lo:[1,0,0] neg_hi:[1,0,0]
	;; [unrolled: 2-line block ×4, first 2 shown]
	v_bfi_b32 v5, s4, v58, v5
	v_bfi_b32 v30, s4, v59, v30
	v_bfi_b32 v29, s4, v60, v29
	v_bfi_b32 v28, s4, v61, v28
	v_pk_add_f16 v5, v51, v5 neg_lo:[0,1] neg_hi:[0,1]
	v_pk_add_f16 v25, v56, v25 neg_lo:[0,1] neg_hi:[0,1]
	;; [unrolled: 1-line block ×6, first 2 shown]
	v_pk_fma_f16 v27, v51, 2.0, v5 op_sel_hi:[1,0,1] neg_lo:[0,0,1] neg_hi:[0,0,1]
	v_pk_fma_f16 v56, v56, 2.0, v25 op_sel_hi:[1,0,1] neg_lo:[0,0,1] neg_hi:[0,0,1]
	;; [unrolled: 1-line block ×6, first 2 shown]
	ds_write_b32 v38, v27
	ds_write_b32 v38, v5 offset:1156
	ds_write_b32 v46, v52
	ds_write_b32 v46, v28 offset:1156
	;; [unrolled: 2-line block ×7, first 2 shown]
	v_pk_mul_f16 v5, v26, v20 op_sel:[0,1]
	v_pk_fma_f16 v13, v26, v20, v5 op_sel:[0,0,1] op_sel_hi:[1,1,0]
	v_pk_fma_f16 v5, v26, v20, v5 op_sel:[0,0,1] op_sel_hi:[1,0,0] neg_lo:[0,0,1] neg_hi:[0,0,1]
	v_bfi_b32 v5, s4, v13, v5
	v_pk_add_f16 v5, v19, v5 neg_lo:[0,1] neg_hi:[0,1]
	v_pk_fma_f16 v13, v19, 2.0, v5 op_sel_hi:[1,0,1] neg_lo:[0,0,1] neg_hi:[0,0,1]
	ds_write_b32 v40, v13
	ds_write_b32 v40, v5 offset:1156
	s_and_saveexec_b64 s[4:5], s[0:1]
	s_cbranch_execz .LBB0_16
; %bb.15:
	v_mov_b32_e32 v19, 0
	v_lshlrev_b64 v[18:19], 2, v[18:19]
	v_mov_b32_e32 v5, s9
	v_add_co_u32_e64 v18, s[2:3], s8, v18
	v_addc_co_u32_e64 v19, s[2:3], v5, v19, s[2:3]
	global_load_dword v5, v[18:19], off offset:1088
	s_waitcnt vmcnt(0)
	v_mul_f16_sdwa v13, v50, v5 dst_sel:DWORD dst_unused:UNUSED_PAD src0_sel:DWORD src1_sel:WORD_1
	v_mul_f16_sdwa v18, v49, v5 dst_sel:DWORD dst_unused:UNUSED_PAD src0_sel:DWORD src1_sel:WORD_1
	v_fma_f16 v13, v49, v5, v13
	v_fma_f16 v5, v50, v5, -v18
	v_sub_f16_e32 v13, v47, v13
	v_sub_f16_e32 v5, v48, v5
	v_fma_f16 v18, v47, 2.0, -v13
	v_fma_f16 v19, v48, 2.0, -v5
	v_pack_b32_f16 v5, v13, v5
	v_pack_b32_f16 v13, v18, v19
	ds_write_b32 v38, v13 offset:1088
	ds_write_b32 v38, v5 offset:2244
.LBB0_16:
	s_or_b64 exec, exec, s[4:5]
	s_waitcnt lgkmcnt(0)
	s_barrier
	ds_read_b32 v20, v35
	v_sub_u32_e32 v5, v37, v36
	v_cmp_ne_u32_e64 s[2:3], 0, v4
                                        ; implicit-def: $vgpr19
                                        ; implicit-def: $vgpr13
                                        ; implicit-def: $vgpr18
	s_and_saveexec_b64 s[4:5], s[2:3]
	s_xor_b64 s[2:3], exec, s[4:5]
	s_cbranch_execz .LBB0_18
; %bb.17:
	global_load_dword v19, v[33:34], off offset:2244
	ds_read_b32 v13, v5 offset:2312
                                        ; implicit-def: $vgpr37
	s_waitcnt lgkmcnt(0)
	v_add_f16_sdwa v18, v13, v20 dst_sel:DWORD dst_unused:UNUSED_PAD src0_sel:WORD_1 src1_sel:WORD_1
	v_sub_f16_e32 v26, v20, v13
	v_add_f16_e32 v25, v13, v20
	v_sub_f16_sdwa v13, v20, v13 dst_sel:DWORD dst_unused:UNUSED_PAD src0_sel:WORD_1 src1_sel:WORD_1
	v_mul_f16_e32 v20, 0.5, v18
	v_mul_f16_e32 v26, 0.5, v26
	;; [unrolled: 1-line block ×3, first 2 shown]
	s_waitcnt vmcnt(0)
	v_lshrrev_b32_e32 v18, 16, v19
	v_mul_f16_e32 v27, v18, v26
	v_fma_f16 v28, v20, v18, v13
	v_fma_f16 v29, v20, v18, -v13
	v_fma_f16 v13, v25, 0.5, v27
	v_fma_f16 v25, v25, 0.5, -v27
	v_fma_f16 v27, v19, v20, v13
	v_fma_f16 v18, -v19, v26, v28
	v_fma_f16 v13, -v19, v20, v25
	ds_write_b16 v35, v27
	v_fma_f16 v19, -v19, v26, v29
                                        ; implicit-def: $vgpr20
.LBB0_18:
	s_andn2_saveexec_b64 s[2:3], s[2:3]
	s_cbranch_execz .LBB0_20
; %bb.19:
	ds_read_u16 v19, v37 offset:1158
	s_waitcnt lgkmcnt(1)
	v_add_f16_sdwa v25, v20, v20 dst_sel:DWORD dst_unused:UNUSED_PAD src0_sel:WORD_1 src1_sel:DWORD
	v_sub_f16_sdwa v13, v20, v20 dst_sel:DWORD dst_unused:UNUSED_PAD src0_sel:DWORD src1_sel:WORD_1
	v_mov_b32_e32 v18, 0
	ds_write_b16 v35, v25
	s_waitcnt lgkmcnt(1)
	v_xor_b32_e32 v19, 0x8000, v19
	ds_write_b16 v37, v19 offset:1158
	v_mov_b32_e32 v19, 0
.LBB0_20:
	s_or_b64 exec, exec, s[2:3]
	s_waitcnt lgkmcnt(0)
	global_load_dword v20, v[21:22], off offset:2244
	global_load_dword v25, v[23:24], off offset:2244
	global_load_dword v26, v[16:17], off offset:2244
	s_mov_b32 s2, 0x5040100
	v_perm_b32 v13, v19, v13, s2
	ds_write_b16 v35, v18 offset:2
	ds_write_b32 v5, v13 offset:2312
	ds_read_b32 v16, v5 offset:2176
	ds_read_b32 v13, v46
	global_load_dword v17, v[2:3], off offset:2244
	global_load_dword v18, v[14:15], off offset:2244
	;; [unrolled: 1-line block ×4, first 2 shown]
	s_mov_b32 s4, 0xffff
	s_waitcnt lgkmcnt(0)
	v_pk_add_f16 v2, v13, v16 neg_lo:[0,1] neg_hi:[0,1]
	v_pk_add_f16 v3, v13, v16
	v_bfi_b32 v9, s4, v2, v3
	v_bfi_b32 v2, s4, v3, v2
	v_pk_mul_f16 v3, v9, 0.5 op_sel_hi:[1,0]
	v_pk_mul_f16 v2, v2, 0.5 op_sel_hi:[1,0]
	s_waitcnt vmcnt(6)
	v_pk_fma_f16 v9, v20, v3, v2 op_sel:[1,0,0]
	v_pk_mul_f16 v10, v20, v3 op_sel_hi:[0,1]
	v_pk_fma_f16 v11, v20, v3, v2 op_sel:[1,0,0] neg_lo:[1,0,0] neg_hi:[1,0,0]
	v_pk_fma_f16 v2, v20, v3, v2 op_sel:[1,0,0] neg_lo:[0,0,1] neg_hi:[0,0,1]
	v_pk_add_f16 v3, v9, v10 op_sel:[0,1] op_sel_hi:[1,0]
	v_pk_add_f16 v9, v9, v10 op_sel:[0,1] op_sel_hi:[1,0] neg_lo:[0,1] neg_hi:[0,1]
	v_pk_add_f16 v11, v11, v10 op_sel:[0,1] op_sel_hi:[1,0] neg_lo:[0,1] neg_hi:[0,1]
	v_pk_add_f16 v2, v2, v10 op_sel:[0,1] op_sel_hi:[1,0] neg_lo:[0,1] neg_hi:[0,1]
	v_bfi_b32 v3, s4, v3, v9
	v_bfi_b32 v2, s4, v11, v2
	ds_write_b32 v46, v3
	ds_write_b32 v5, v2 offset:2176
	ds_read_b32 v2, v45
	ds_read_b32 v3, v5 offset:2040
	s_waitcnt lgkmcnt(0)
	v_pk_add_f16 v9, v2, v3 neg_lo:[0,1] neg_hi:[0,1]
	v_pk_add_f16 v2, v2, v3
	v_bfi_b32 v3, s4, v9, v2
	v_bfi_b32 v2, s4, v2, v9
	v_pk_mul_f16 v3, v3, 0.5 op_sel_hi:[1,0]
	v_pk_mul_f16 v2, v2, 0.5 op_sel_hi:[1,0]
	s_waitcnt vmcnt(5)
	v_pk_fma_f16 v9, v25, v3, v2 op_sel:[1,0,0]
	v_pk_mul_f16 v10, v25, v3 op_sel_hi:[0,1]
	v_pk_fma_f16 v11, v25, v3, v2 op_sel:[1,0,0] neg_lo:[1,0,0] neg_hi:[1,0,0]
	v_pk_fma_f16 v2, v25, v3, v2 op_sel:[1,0,0] neg_lo:[0,0,1] neg_hi:[0,0,1]
	v_pk_add_f16 v3, v9, v10 op_sel:[0,1] op_sel_hi:[1,0]
	v_pk_add_f16 v9, v9, v10 op_sel:[0,1] op_sel_hi:[1,0] neg_lo:[0,1] neg_hi:[0,1]
	v_pk_add_f16 v11, v11, v10 op_sel:[0,1] op_sel_hi:[1,0] neg_lo:[0,1] neg_hi:[0,1]
	v_pk_add_f16 v2, v2, v10 op_sel:[0,1] op_sel_hi:[1,0] neg_lo:[0,1] neg_hi:[0,1]
	v_bfi_b32 v3, s4, v3, v9
	v_bfi_b32 v2, s4, v11, v2
	ds_write_b32 v45, v3
	ds_write_b32 v5, v2 offset:2040
	ds_read_b32 v2, v42
	ds_read_b32 v3, v5 offset:1904
	;; [unrolled: 22-line block ×6, first 2 shown]
	s_waitcnt lgkmcnt(0)
	v_pk_add_f16 v9, v2, v3 neg_lo:[0,1] neg_hi:[0,1]
	v_pk_add_f16 v2, v2, v3
	v_bfi_b32 v3, s4, v9, v2
	v_bfi_b32 v2, s4, v2, v9
	v_pk_mul_f16 v3, v3, 0.5 op_sel_hi:[1,0]
	v_pk_mul_f16 v2, v2, 0.5 op_sel_hi:[1,0]
	s_waitcnt vmcnt(0)
	v_pk_fma_f16 v9, v21, v3, v2 op_sel:[1,0,0]
	v_pk_mul_f16 v10, v21, v3 op_sel_hi:[0,1]
	v_pk_fma_f16 v11, v21, v3, v2 op_sel:[1,0,0] neg_lo:[1,0,0] neg_hi:[1,0,0]
	v_pk_fma_f16 v2, v21, v3, v2 op_sel:[1,0,0] neg_lo:[0,0,1] neg_hi:[0,0,1]
	v_pk_add_f16 v3, v9, v10 op_sel:[0,1] op_sel_hi:[1,0]
	v_pk_add_f16 v9, v9, v10 op_sel:[0,1] op_sel_hi:[1,0] neg_lo:[0,1] neg_hi:[0,1]
	v_pk_add_f16 v11, v11, v10 op_sel:[0,1] op_sel_hi:[1,0] neg_lo:[0,1] neg_hi:[0,1]
	v_pk_add_f16 v2, v2, v10 op_sel:[0,1] op_sel_hi:[1,0] neg_lo:[0,1] neg_hi:[0,1]
	v_bfi_b32 v3, s4, v3, v9
	v_bfi_b32 v2, s4, v11, v2
	ds_write_b32 v40, v3
	ds_write_b32 v5, v2 offset:1360
	s_and_saveexec_b64 s[2:3], s[0:1]
	s_cbranch_execz .LBB0_22
; %bb.21:
	v_mov_b32_e32 v9, 0
	v_lshlrev_b64 v[2:3], 2, v[8:9]
	v_mov_b32_e32 v8, s9
	v_add_co_u32_e64 v2, s[0:1], s8, v2
	v_addc_co_u32_e64 v3, s[0:1], v8, v3, s[0:1]
	global_load_dword v2, v[2:3], off offset:2244
	ds_read_b32 v3, v39
	ds_read_b32 v8, v5 offset:1224
	s_waitcnt lgkmcnt(0)
	v_pk_add_f16 v9, v3, v8 neg_lo:[0,1] neg_hi:[0,1]
	v_pk_add_f16 v3, v3, v8
	v_bfi_b32 v8, s4, v9, v3
	v_bfi_b32 v3, s4, v3, v9
	v_pk_mul_f16 v8, v8, 0.5 op_sel_hi:[1,0]
	v_pk_mul_f16 v3, v3, 0.5 op_sel_hi:[1,0]
	s_waitcnt vmcnt(0)
	v_pk_fma_f16 v9, v2, v8, v3 op_sel:[1,0,0]
	v_pk_mul_f16 v10, v2, v8 op_sel_hi:[0,1]
	v_pk_fma_f16 v11, v2, v8, v3 op_sel:[1,0,0] neg_lo:[1,0,0] neg_hi:[1,0,0]
	v_pk_fma_f16 v2, v2, v8, v3 op_sel:[1,0,0] neg_lo:[0,0,1] neg_hi:[0,0,1]
	v_pk_add_f16 v3, v9, v10 op_sel:[0,1] op_sel_hi:[1,0]
	v_pk_add_f16 v8, v9, v10 op_sel:[0,1] op_sel_hi:[1,0] neg_lo:[0,1] neg_hi:[0,1]
	v_pk_add_f16 v9, v11, v10 op_sel:[0,1] op_sel_hi:[1,0] neg_lo:[0,1] neg_hi:[0,1]
	;; [unrolled: 1-line block ×3, first 2 shown]
	v_bfi_b32 v3, s4, v3, v8
	v_bfi_b32 v2, s4, v9, v2
	ds_write_b32 v39, v3
	ds_write_b32 v5, v2 offset:1224
.LBB0_22:
	s_or_b64 exec, exec, s[2:3]
	s_waitcnt lgkmcnt(0)
	s_barrier
	s_and_saveexec_b64 s[0:1], vcc
	s_cbranch_execz .LBB0_25
; %bb.23:
	ds_read2_b32 v[8:9], v35 offset1:34
	v_mov_b32_e32 v3, s13
	v_add_co_u32_e32 v2, vcc, s12, v6
	ds_read2_b32 v[5:6], v35 offset0:68 offset1:102
	v_addc_co_u32_e32 v3, vcc, v3, v7, vcc
	v_add_co_u32_e32 v0, vcc, v2, v0
	v_addc_co_u32_e32 v1, vcc, v3, v1, vcc
	s_waitcnt lgkmcnt(1)
	global_store_dword v[0:1], v8, off
	ds_read2_b32 v[7:8], v35 offset0:136 offset1:170
	global_store_dword v[0:1], v9, off offset:136
	s_waitcnt lgkmcnt(1)
	global_store_dword v[0:1], v5, off offset:272
	global_store_dword v[0:1], v6, off offset:408
	ds_read2_b32 v[5:6], v35 offset0:204 offset1:238
	v_add_u32_e32 v11, 0x400, v35
	ds_read2_b32 v[9:10], v11 offset0:16 offset1:50
	s_waitcnt lgkmcnt(2)
	global_store_dword v[0:1], v7, off offset:544
	global_store_dword v[0:1], v8, off offset:680
	s_waitcnt lgkmcnt(1)
	global_store_dword v[0:1], v5, off offset:816
	ds_read2_b32 v[7:8], v11 offset0:84 offset1:118
	global_store_dword v[0:1], v6, off offset:952
	s_waitcnt lgkmcnt(1)
	global_store_dword v[0:1], v9, off offset:1088
	global_store_dword v[0:1], v10, off offset:1224
	ds_read2_b32 v[5:6], v11 offset0:152 offset1:186
	ds_read2_b32 v[9:10], v11 offset0:220 offset1:254
	v_cmp_eq_u32_e32 vcc, 33, v4
	s_waitcnt lgkmcnt(2)
	global_store_dword v[0:1], v7, off offset:1360
	ds_read_b32 v7, v35 offset:2176
	global_store_dword v[0:1], v8, off offset:1496
	s_waitcnt lgkmcnt(2)
	global_store_dword v[0:1], v5, off offset:1632
	global_store_dword v[0:1], v6, off offset:1768
	s_waitcnt lgkmcnt(1)
	global_store_dword v[0:1], v9, off offset:1904
	;; [unrolled: 3-line block ×3, first 2 shown]
	s_and_b64 exec, exec, vcc
	s_cbranch_execz .LBB0_25
; %bb.24:
	ds_read_b32 v0, v35 offset:2180
	s_waitcnt lgkmcnt(0)
	global_store_dword v[2:3], v0, off offset:2312
.LBB0_25:
	s_endpgm
	.section	.rodata,"a",@progbits
	.p2align	6, 0x0
	.amdhsa_kernel fft_rtc_back_len578_factors_17_17_2_wgs_238_tpt_34_halfLds_half_ip_CI_unitstride_sbrr_R2C_dirReg
		.amdhsa_group_segment_fixed_size 0
		.amdhsa_private_segment_fixed_size 0
		.amdhsa_kernarg_size 88
		.amdhsa_user_sgpr_count 6
		.amdhsa_user_sgpr_private_segment_buffer 1
		.amdhsa_user_sgpr_dispatch_ptr 0
		.amdhsa_user_sgpr_queue_ptr 0
		.amdhsa_user_sgpr_kernarg_segment_ptr 1
		.amdhsa_user_sgpr_dispatch_id 0
		.amdhsa_user_sgpr_flat_scratch_init 0
		.amdhsa_user_sgpr_private_segment_size 0
		.amdhsa_uses_dynamic_stack 0
		.amdhsa_system_sgpr_private_segment_wavefront_offset 0
		.amdhsa_system_sgpr_workgroup_id_x 1
		.amdhsa_system_sgpr_workgroup_id_y 0
		.amdhsa_system_sgpr_workgroup_id_z 0
		.amdhsa_system_sgpr_workgroup_info 0
		.amdhsa_system_vgpr_workitem_id 0
		.amdhsa_next_free_vgpr 121
		.amdhsa_next_free_sgpr 34
		.amdhsa_reserve_vcc 1
		.amdhsa_reserve_flat_scratch 0
		.amdhsa_float_round_mode_32 0
		.amdhsa_float_round_mode_16_64 0
		.amdhsa_float_denorm_mode_32 3
		.amdhsa_float_denorm_mode_16_64 3
		.amdhsa_dx10_clamp 1
		.amdhsa_ieee_mode 1
		.amdhsa_fp16_overflow 0
		.amdhsa_exception_fp_ieee_invalid_op 0
		.amdhsa_exception_fp_denorm_src 0
		.amdhsa_exception_fp_ieee_div_zero 0
		.amdhsa_exception_fp_ieee_overflow 0
		.amdhsa_exception_fp_ieee_underflow 0
		.amdhsa_exception_fp_ieee_inexact 0
		.amdhsa_exception_int_div_zero 0
	.end_amdhsa_kernel
	.text
.Lfunc_end0:
	.size	fft_rtc_back_len578_factors_17_17_2_wgs_238_tpt_34_halfLds_half_ip_CI_unitstride_sbrr_R2C_dirReg, .Lfunc_end0-fft_rtc_back_len578_factors_17_17_2_wgs_238_tpt_34_halfLds_half_ip_CI_unitstride_sbrr_R2C_dirReg
                                        ; -- End function
	.section	.AMDGPU.csdata,"",@progbits
; Kernel info:
; codeLenInByte = 15152
; NumSgprs: 38
; NumVgprs: 121
; ScratchSize: 0
; MemoryBound: 0
; FloatMode: 240
; IeeeMode: 1
; LDSByteSize: 0 bytes/workgroup (compile time only)
; SGPRBlocks: 4
; VGPRBlocks: 30
; NumSGPRsForWavesPerEU: 38
; NumVGPRsForWavesPerEU: 121
; Occupancy: 2
; WaveLimiterHint : 1
; COMPUTE_PGM_RSRC2:SCRATCH_EN: 0
; COMPUTE_PGM_RSRC2:USER_SGPR: 6
; COMPUTE_PGM_RSRC2:TRAP_HANDLER: 0
; COMPUTE_PGM_RSRC2:TGID_X_EN: 1
; COMPUTE_PGM_RSRC2:TGID_Y_EN: 0
; COMPUTE_PGM_RSRC2:TGID_Z_EN: 0
; COMPUTE_PGM_RSRC2:TIDIG_COMP_CNT: 0
	.type	__hip_cuid_7305a3b4b79d29d7,@object ; @__hip_cuid_7305a3b4b79d29d7
	.section	.bss,"aw",@nobits
	.globl	__hip_cuid_7305a3b4b79d29d7
__hip_cuid_7305a3b4b79d29d7:
	.byte	0                               ; 0x0
	.size	__hip_cuid_7305a3b4b79d29d7, 1

	.ident	"AMD clang version 19.0.0git (https://github.com/RadeonOpenCompute/llvm-project roc-6.4.0 25133 c7fe45cf4b819c5991fe208aaa96edf142730f1d)"
	.section	".note.GNU-stack","",@progbits
	.addrsig
	.addrsig_sym __hip_cuid_7305a3b4b79d29d7
	.amdgpu_metadata
---
amdhsa.kernels:
  - .args:
      - .actual_access:  read_only
        .address_space:  global
        .offset:         0
        .size:           8
        .value_kind:     global_buffer
      - .offset:         8
        .size:           8
        .value_kind:     by_value
      - .actual_access:  read_only
        .address_space:  global
        .offset:         16
        .size:           8
        .value_kind:     global_buffer
      - .actual_access:  read_only
        .address_space:  global
        .offset:         24
        .size:           8
        .value_kind:     global_buffer
      - .offset:         32
        .size:           8
        .value_kind:     by_value
      - .actual_access:  read_only
        .address_space:  global
        .offset:         40
        .size:           8
        .value_kind:     global_buffer
      - .actual_access:  read_only
        .address_space:  global
        .offset:         48
        .size:           8
        .value_kind:     global_buffer
      - .offset:         56
        .size:           4
        .value_kind:     by_value
      - .actual_access:  read_only
        .address_space:  global
        .offset:         64
        .size:           8
        .value_kind:     global_buffer
      - .actual_access:  read_only
        .address_space:  global
        .offset:         72
        .size:           8
        .value_kind:     global_buffer
      - .address_space:  global
        .offset:         80
        .size:           8
        .value_kind:     global_buffer
    .group_segment_fixed_size: 0
    .kernarg_segment_align: 8
    .kernarg_segment_size: 88
    .language:       OpenCL C
    .language_version:
      - 2
      - 0
    .max_flat_workgroup_size: 238
    .name:           fft_rtc_back_len578_factors_17_17_2_wgs_238_tpt_34_halfLds_half_ip_CI_unitstride_sbrr_R2C_dirReg
    .private_segment_fixed_size: 0
    .sgpr_count:     38
    .sgpr_spill_count: 0
    .symbol:         fft_rtc_back_len578_factors_17_17_2_wgs_238_tpt_34_halfLds_half_ip_CI_unitstride_sbrr_R2C_dirReg.kd
    .uniform_work_group_size: 1
    .uses_dynamic_stack: false
    .vgpr_count:     121
    .vgpr_spill_count: 0
    .wavefront_size: 64
amdhsa.target:   amdgcn-amd-amdhsa--gfx906
amdhsa.version:
  - 1
  - 2
...

	.end_amdgpu_metadata
